;; amdgpu-corpus repo=ROCm/rocFFT kind=compiled arch=gfx1201 opt=O3
	.text
	.amdgcn_target "amdgcn-amd-amdhsa--gfx1201"
	.amdhsa_code_object_version 6
	.protected	fft_rtc_fwd_len714_factors_3_17_7_2_wgs_51_tpt_51_halfLds_half_op_CI_CI_sbrr_dirReg ; -- Begin function fft_rtc_fwd_len714_factors_3_17_7_2_wgs_51_tpt_51_halfLds_half_op_CI_CI_sbrr_dirReg
	.globl	fft_rtc_fwd_len714_factors_3_17_7_2_wgs_51_tpt_51_halfLds_half_op_CI_CI_sbrr_dirReg
	.p2align	8
	.type	fft_rtc_fwd_len714_factors_3_17_7_2_wgs_51_tpt_51_halfLds_half_op_CI_CI_sbrr_dirReg,@function
fft_rtc_fwd_len714_factors_3_17_7_2_wgs_51_tpt_51_halfLds_half_op_CI_CI_sbrr_dirReg: ; @fft_rtc_fwd_len714_factors_3_17_7_2_wgs_51_tpt_51_halfLds_half_op_CI_CI_sbrr_dirReg
; %bb.0:
	s_clause 0x2
	s_load_b128 s[12:15], s[0:1], 0x18
	s_load_b128 s[8:11], s[0:1], 0x0
	;; [unrolled: 1-line block ×3, first 2 shown]
	v_mul_u32_u24_e32 v1, 0x506, v0
	v_dual_mov_b32 v3, 0 :: v_dual_mov_b32 v12, 0
	v_mov_b32_e32 v13, 0
	s_wait_kmcnt 0x0
	s_load_b64 s[18:19], s[12:13], 0x0
	s_load_b64 s[16:17], s[14:15], 0x0
	v_lshrrev_b32_e32 v1, 16, v1
	v_cmp_lt_u64_e64 s2, s[10:11], 2
	s_delay_alu instid0(VALU_DEP_2) | instskip(NEXT) | instid1(VALU_DEP_2)
	v_dual_mov_b32 v8, v3 :: v_dual_add_nc_u32 v7, ttmp9, v1
	s_and_b32 vcc_lo, exec_lo, s2
	s_cbranch_vccnz .LBB0_8
; %bb.1:
	s_load_b64 s[2:3], s[0:1], 0x10
	v_mov_b32_e32 v12, 0
	v_mov_b32_e32 v13, 0
	s_delay_alu instid0(VALU_DEP_2)
	v_mov_b32_e32 v1, v12
	s_add_nc_u64 s[20:21], s[14:15], 8
	s_add_nc_u64 s[22:23], s[12:13], 8
	s_mov_b64 s[24:25], 1
	v_mov_b32_e32 v2, v13
	s_wait_kmcnt 0x0
	s_add_nc_u64 s[26:27], s[2:3], 8
	s_mov_b32 s3, 0
.LBB0_2:                                ; =>This Inner Loop Header: Depth=1
	s_load_b64 s[28:29], s[26:27], 0x0
                                        ; implicit-def: $vgpr5_vgpr6
	s_mov_b32 s2, exec_lo
	s_wait_kmcnt 0x0
	v_or_b32_e32 v4, s29, v8
	s_delay_alu instid0(VALU_DEP_1)
	v_cmpx_ne_u64_e32 0, v[3:4]
	s_wait_alu 0xfffe
	s_xor_b32 s30, exec_lo, s2
	s_cbranch_execz .LBB0_4
; %bb.3:                                ;   in Loop: Header=BB0_2 Depth=1
	s_cvt_f32_u32 s2, s28
	s_cvt_f32_u32 s31, s29
	s_sub_nc_u64 s[36:37], 0, s[28:29]
	s_wait_alu 0xfffe
	s_delay_alu instid0(SALU_CYCLE_1) | instskip(SKIP_1) | instid1(SALU_CYCLE_2)
	s_fmamk_f32 s2, s31, 0x4f800000, s2
	s_wait_alu 0xfffe
	v_s_rcp_f32 s2, s2
	s_delay_alu instid0(TRANS32_DEP_1) | instskip(SKIP_1) | instid1(SALU_CYCLE_2)
	s_mul_f32 s2, s2, 0x5f7ffffc
	s_wait_alu 0xfffe
	s_mul_f32 s31, s2, 0x2f800000
	s_wait_alu 0xfffe
	s_delay_alu instid0(SALU_CYCLE_2) | instskip(SKIP_1) | instid1(SALU_CYCLE_2)
	s_trunc_f32 s31, s31
	s_wait_alu 0xfffe
	s_fmamk_f32 s2, s31, 0xcf800000, s2
	s_cvt_u32_f32 s35, s31
	s_wait_alu 0xfffe
	s_delay_alu instid0(SALU_CYCLE_1) | instskip(SKIP_1) | instid1(SALU_CYCLE_2)
	s_cvt_u32_f32 s34, s2
	s_wait_alu 0xfffe
	s_mul_u64 s[38:39], s[36:37], s[34:35]
	s_wait_alu 0xfffe
	s_mul_hi_u32 s41, s34, s39
	s_mul_i32 s40, s34, s39
	s_mul_hi_u32 s2, s34, s38
	s_mul_i32 s33, s35, s38
	s_wait_alu 0xfffe
	s_add_nc_u64 s[40:41], s[2:3], s[40:41]
	s_mul_hi_u32 s31, s35, s38
	s_mul_hi_u32 s42, s35, s39
	s_add_co_u32 s2, s40, s33
	s_wait_alu 0xfffe
	s_add_co_ci_u32 s2, s41, s31
	s_mul_i32 s38, s35, s39
	s_add_co_ci_u32 s39, s42, 0
	s_wait_alu 0xfffe
	s_add_nc_u64 s[38:39], s[2:3], s[38:39]
	s_wait_alu 0xfffe
	v_add_co_u32 v4, s2, s34, s38
	s_delay_alu instid0(VALU_DEP_1) | instskip(SKIP_1) | instid1(VALU_DEP_1)
	s_cmp_lg_u32 s2, 0
	s_add_co_ci_u32 s35, s35, s39
	v_readfirstlane_b32 s34, v4
	s_wait_alu 0xfffe
	s_delay_alu instid0(VALU_DEP_1)
	s_mul_u64 s[36:37], s[36:37], s[34:35]
	s_wait_alu 0xfffe
	s_mul_hi_u32 s39, s34, s37
	s_mul_i32 s38, s34, s37
	s_mul_hi_u32 s2, s34, s36
	s_mul_i32 s33, s35, s36
	s_wait_alu 0xfffe
	s_add_nc_u64 s[38:39], s[2:3], s[38:39]
	s_mul_hi_u32 s31, s35, s36
	s_mul_hi_u32 s34, s35, s37
	s_wait_alu 0xfffe
	s_add_co_u32 s2, s38, s33
	s_add_co_ci_u32 s2, s39, s31
	s_mul_i32 s36, s35, s37
	s_add_co_ci_u32 s37, s34, 0
	s_wait_alu 0xfffe
	s_add_nc_u64 s[36:37], s[2:3], s[36:37]
	s_wait_alu 0xfffe
	v_add_co_u32 v6, s2, v4, s36
	s_delay_alu instid0(VALU_DEP_1) | instskip(SKIP_1) | instid1(VALU_DEP_1)
	s_cmp_lg_u32 s2, 0
	s_add_co_ci_u32 s2, s35, s37
	v_mul_hi_u32 v11, v7, v6
	s_wait_alu 0xfffe
	v_mad_co_u64_u32 v[4:5], null, v7, s2, 0
	v_mad_co_u64_u32 v[9:10], null, v8, v6, 0
	;; [unrolled: 1-line block ×3, first 2 shown]
	s_delay_alu instid0(VALU_DEP_3) | instskip(SKIP_1) | instid1(VALU_DEP_4)
	v_add_co_u32 v4, vcc_lo, v11, v4
	s_wait_alu 0xfffd
	v_add_co_ci_u32_e32 v5, vcc_lo, 0, v5, vcc_lo
	s_delay_alu instid0(VALU_DEP_2) | instskip(SKIP_1) | instid1(VALU_DEP_2)
	v_add_co_u32 v4, vcc_lo, v4, v9
	s_wait_alu 0xfffd
	v_add_co_ci_u32_e32 v4, vcc_lo, v5, v10, vcc_lo
	s_wait_alu 0xfffd
	v_add_co_ci_u32_e32 v5, vcc_lo, 0, v15, vcc_lo
	s_delay_alu instid0(VALU_DEP_2) | instskip(SKIP_1) | instid1(VALU_DEP_2)
	v_add_co_u32 v9, vcc_lo, v4, v14
	s_wait_alu 0xfffd
	v_add_co_ci_u32_e32 v6, vcc_lo, 0, v5, vcc_lo
	s_delay_alu instid0(VALU_DEP_2) | instskip(SKIP_1) | instid1(VALU_DEP_3)
	v_mul_lo_u32 v10, s29, v9
	v_mad_co_u64_u32 v[4:5], null, s28, v9, 0
	v_mul_lo_u32 v11, s28, v6
	s_delay_alu instid0(VALU_DEP_2) | instskip(NEXT) | instid1(VALU_DEP_2)
	v_sub_co_u32 v4, vcc_lo, v7, v4
	v_add3_u32 v5, v5, v11, v10
	s_delay_alu instid0(VALU_DEP_1) | instskip(SKIP_1) | instid1(VALU_DEP_1)
	v_sub_nc_u32_e32 v10, v8, v5
	s_wait_alu 0xfffd
	v_subrev_co_ci_u32_e64 v10, s2, s29, v10, vcc_lo
	v_add_co_u32 v11, s2, v9, 2
	s_wait_alu 0xf1ff
	v_add_co_ci_u32_e64 v14, s2, 0, v6, s2
	v_sub_co_u32 v15, s2, v4, s28
	v_sub_co_ci_u32_e32 v5, vcc_lo, v8, v5, vcc_lo
	s_wait_alu 0xf1ff
	v_subrev_co_ci_u32_e64 v10, s2, 0, v10, s2
	s_delay_alu instid0(VALU_DEP_3) | instskip(NEXT) | instid1(VALU_DEP_3)
	v_cmp_le_u32_e32 vcc_lo, s28, v15
	v_cmp_eq_u32_e64 s2, s29, v5
	s_wait_alu 0xfffd
	v_cndmask_b32_e64 v15, 0, -1, vcc_lo
	v_cmp_le_u32_e32 vcc_lo, s29, v10
	s_wait_alu 0xfffd
	v_cndmask_b32_e64 v16, 0, -1, vcc_lo
	v_cmp_le_u32_e32 vcc_lo, s28, v4
	;; [unrolled: 3-line block ×3, first 2 shown]
	s_wait_alu 0xfffd
	v_cndmask_b32_e64 v17, 0, -1, vcc_lo
	v_cmp_eq_u32_e32 vcc_lo, s29, v10
	s_wait_alu 0xf1ff
	s_delay_alu instid0(VALU_DEP_2)
	v_cndmask_b32_e64 v4, v17, v4, s2
	s_wait_alu 0xfffd
	v_cndmask_b32_e32 v10, v16, v15, vcc_lo
	v_add_co_u32 v15, vcc_lo, v9, 1
	s_wait_alu 0xfffd
	v_add_co_ci_u32_e32 v16, vcc_lo, 0, v6, vcc_lo
	s_delay_alu instid0(VALU_DEP_3) | instskip(SKIP_1) | instid1(VALU_DEP_2)
	v_cmp_ne_u32_e32 vcc_lo, 0, v10
	s_wait_alu 0xfffd
	v_dual_cndmask_b32 v5, v16, v14 :: v_dual_cndmask_b32 v10, v15, v11
	v_cmp_ne_u32_e32 vcc_lo, 0, v4
	s_wait_alu 0xfffd
	s_delay_alu instid0(VALU_DEP_2)
	v_dual_cndmask_b32 v6, v6, v5 :: v_dual_cndmask_b32 v5, v9, v10
.LBB0_4:                                ;   in Loop: Header=BB0_2 Depth=1
	s_wait_alu 0xfffe
	s_and_not1_saveexec_b32 s2, s30
	s_cbranch_execz .LBB0_6
; %bb.5:                                ;   in Loop: Header=BB0_2 Depth=1
	v_cvt_f32_u32_e32 v4, s28
	s_sub_co_i32 s30, 0, s28
	s_delay_alu instid0(VALU_DEP_1) | instskip(NEXT) | instid1(TRANS32_DEP_1)
	v_rcp_iflag_f32_e32 v4, v4
	v_mul_f32_e32 v4, 0x4f7ffffe, v4
	s_delay_alu instid0(VALU_DEP_1) | instskip(SKIP_1) | instid1(VALU_DEP_1)
	v_cvt_u32_f32_e32 v4, v4
	s_wait_alu 0xfffe
	v_mul_lo_u32 v5, s30, v4
	s_delay_alu instid0(VALU_DEP_1) | instskip(NEXT) | instid1(VALU_DEP_1)
	v_mul_hi_u32 v5, v4, v5
	v_add_nc_u32_e32 v4, v4, v5
	s_delay_alu instid0(VALU_DEP_1) | instskip(NEXT) | instid1(VALU_DEP_1)
	v_mul_hi_u32 v4, v7, v4
	v_mul_lo_u32 v5, v4, s28
	v_add_nc_u32_e32 v6, 1, v4
	s_delay_alu instid0(VALU_DEP_2) | instskip(NEXT) | instid1(VALU_DEP_1)
	v_sub_nc_u32_e32 v5, v7, v5
	v_subrev_nc_u32_e32 v9, s28, v5
	v_cmp_le_u32_e32 vcc_lo, s28, v5
	s_wait_alu 0xfffd
	s_delay_alu instid0(VALU_DEP_2) | instskip(NEXT) | instid1(VALU_DEP_1)
	v_dual_cndmask_b32 v5, v5, v9 :: v_dual_cndmask_b32 v4, v4, v6
	v_cmp_le_u32_e32 vcc_lo, s28, v5
	s_delay_alu instid0(VALU_DEP_2) | instskip(SKIP_1) | instid1(VALU_DEP_1)
	v_add_nc_u32_e32 v6, 1, v4
	s_wait_alu 0xfffd
	v_dual_cndmask_b32 v5, v4, v6 :: v_dual_mov_b32 v6, v3
.LBB0_6:                                ;   in Loop: Header=BB0_2 Depth=1
	s_wait_alu 0xfffe
	s_or_b32 exec_lo, exec_lo, s2
	s_delay_alu instid0(VALU_DEP_1) | instskip(NEXT) | instid1(VALU_DEP_2)
	v_mul_lo_u32 v4, v6, s28
	v_mul_lo_u32 v11, v5, s29
	s_load_b64 s[30:31], s[22:23], 0x0
	v_mad_co_u64_u32 v[9:10], null, v5, s28, 0
	s_load_b64 s[28:29], s[20:21], 0x0
	s_add_nc_u64 s[24:25], s[24:25], 1
	s_add_nc_u64 s[20:21], s[20:21], 8
	s_wait_alu 0xfffe
	v_cmp_ge_u64_e64 s2, s[24:25], s[10:11]
	s_add_nc_u64 s[22:23], s[22:23], 8
	s_add_nc_u64 s[26:27], s[26:27], 8
	v_add3_u32 v4, v10, v11, v4
	v_sub_co_u32 v7, vcc_lo, v7, v9
	s_wait_alu 0xfffd
	s_delay_alu instid0(VALU_DEP_2) | instskip(SKIP_2) | instid1(VALU_DEP_1)
	v_sub_co_ci_u32_e32 v4, vcc_lo, v8, v4, vcc_lo
	s_and_b32 vcc_lo, exec_lo, s2
	s_wait_kmcnt 0x0
	v_mul_lo_u32 v8, s30, v4
	v_mul_lo_u32 v9, s31, v7
	v_mad_co_u64_u32 v[12:13], null, s30, v7, v[12:13]
	v_mul_lo_u32 v4, s28, v4
	v_mul_lo_u32 v10, s29, v7
	v_mad_co_u64_u32 v[1:2], null, s28, v7, v[1:2]
	s_delay_alu instid0(VALU_DEP_4) | instskip(NEXT) | instid1(VALU_DEP_2)
	v_add3_u32 v13, v9, v13, v8
	v_add3_u32 v2, v10, v2, v4
	s_wait_alu 0xfffe
	s_cbranch_vccnz .LBB0_9
; %bb.7:                                ;   in Loop: Header=BB0_2 Depth=1
	v_dual_mov_b32 v8, v6 :: v_dual_mov_b32 v7, v5
	s_branch .LBB0_2
.LBB0_8:
	v_dual_mov_b32 v1, v12 :: v_dual_mov_b32 v2, v13
	s_delay_alu instid0(VALU_DEP_2)
	v_dual_mov_b32 v5, v7 :: v_dual_mov_b32 v6, v8
.LBB0_9:
	s_load_b64 s[0:1], s[0:1], 0x28
	v_mul_hi_u32 v26, 0x5050506, v0
	s_lshl_b64 s[10:11], s[10:11], 3
                                        ; implicit-def: $vgpr3
                                        ; implicit-def: $vgpr7
                                        ; implicit-def: $vgpr9
                                        ; implicit-def: $vgpr11
	s_wait_alu 0xfffe
	s_add_nc_u64 s[2:3], s[14:15], s[10:11]
	s_wait_kmcnt 0x0
	v_cmp_gt_u64_e32 vcc_lo, s[0:1], v[5:6]
	v_cmp_le_u64_e64 s0, s[0:1], v[5:6]
	s_delay_alu instid0(VALU_DEP_1)
	s_and_saveexec_b32 s1, s0
	s_wait_alu 0xfffe
	s_xor_b32 s0, exec_lo, s1
; %bb.10:
	v_mul_u32_u24_e32 v3, 51, v26
                                        ; implicit-def: $vgpr26
                                        ; implicit-def: $vgpr12_vgpr13
	s_delay_alu instid0(VALU_DEP_1) | instskip(NEXT) | instid1(VALU_DEP_1)
	v_sub_nc_u32_e32 v3, v0, v3
                                        ; implicit-def: $vgpr0
	v_add_nc_u32_e32 v7, 51, v3
	v_add_nc_u32_e32 v9, 0x66, v3
	;; [unrolled: 1-line block ×3, first 2 shown]
; %bb.11:
	s_wait_alu 0xfffe
	s_or_saveexec_b32 s1, s0
	s_load_b64 s[2:3], s[2:3], 0x0
                                        ; implicit-def: $vgpr16
                                        ; implicit-def: $vgpr8
                                        ; implicit-def: $vgpr50
                                        ; implicit-def: $vgpr19
                                        ; implicit-def: $vgpr45
                                        ; implicit-def: $vgpr28
                                        ; implicit-def: $vgpr20
                                        ; implicit-def: $vgpr14
                                        ; implicit-def: $vgpr51
                                        ; implicit-def: $vgpr17
                                        ; implicit-def: $vgpr47
                                        ; implicit-def: $vgpr18
                                        ; implicit-def: $vgpr21
                                        ; implicit-def: $vgpr15
                                        ; implicit-def: $vgpr49
                                        ; implicit-def: $vgpr22
                                        ; implicit-def: $vgpr48
                                        ; implicit-def: $vgpr24
                                        ; implicit-def: $vgpr32
                                        ; implicit-def: $vgpr23
                                        ; implicit-def: $vgpr46
                                        ; implicit-def: $vgpr4
                                        ; implicit-def: $vgpr44
                                        ; implicit-def: $vgpr10
                                        ; implicit-def: $vgpr31
                                        ; implicit-def: $vgpr25
                                        ; implicit-def: $vgpr43
                                        ; implicit-def: $vgpr29
                                        ; implicit-def: $vgpr39
                                        ; implicit-def: $vgpr42
	s_xor_b32 exec_lo, exec_lo, s1
	s_cbranch_execz .LBB0_15
; %bb.12:
	v_mul_u32_u24_e32 v3, 51, v26
	s_add_nc_u64 s[10:11], s[12:13], s[10:11]
	v_lshlrev_b64_e32 v[10:11], 2, v[12:13]
	s_load_b64 s[10:11], s[10:11], 0x0
	s_delay_alu instid0(VALU_DEP_2) | instskip(NEXT) | instid1(VALU_DEP_1)
	v_sub_nc_u32_e32 v3, v0, v3
	v_mad_co_u64_u32 v[8:9], null, s18, v3, 0
	v_add_nc_u32_e32 v7, 51, v3
	v_add_nc_u32_e32 v12, 0x1dc, v3
	s_delay_alu instid0(VALU_DEP_1) | instskip(NEXT) | instid1(VALU_DEP_4)
	v_mad_co_u64_u32 v[15:16], null, s18, v12, 0
	v_mov_b32_e32 v0, v9
	s_wait_kmcnt 0x0
	v_mul_lo_u32 v9, s11, v5
	v_mul_lo_u32 v23, s10, v6
	v_mad_co_u64_u32 v[17:18], null, s10, v5, 0
	v_mad_co_u64_u32 v[19:20], null, s19, v3, v[0:1]
	v_add_nc_u32_e32 v22, 0xee, v3
	v_mov_b32_e32 v4, v16
	v_mad_co_u64_u32 v[20:21], null, s18, v7, 0
	v_add3_u32 v18, v18, v23, v9
	v_mov_b32_e32 v9, v19
	v_mad_co_u64_u32 v[13:14], null, s18, v22, 0
	v_add_nc_u32_e32 v25, 0x121, v3
	s_delay_alu instid0(VALU_DEP_4) | instskip(SKIP_4) | instid1(VALU_DEP_1)
	v_lshlrev_b64_e32 v[16:17], 2, v[17:18]
	v_mad_co_u64_u32 v[18:19], null, s19, v12, v[4:5]
	v_lshlrev_b64_e32 v[8:9], 2, v[8:9]
	v_mov_b32_e32 v4, v21
	v_mov_b32_e32 v0, v14
	v_mad_co_u64_u32 v[22:23], null, s19, v22, v[0:1]
	v_add_co_u32 v0, s0, s4, v16
	s_wait_alu 0xf1ff
	v_add_co_ci_u32_e64 v12, s0, s5, v17, s0
	v_mad_co_u64_u32 v[23:24], null, s18, v25, 0
	s_delay_alu instid0(VALU_DEP_4) | instskip(SKIP_3) | instid1(VALU_DEP_3)
	v_mov_b32_e32 v14, v22
	v_add_co_u32 v0, s0, v0, v10
	s_wait_alu 0xf1ff
	v_add_co_ci_u32_e64 v12, s0, v12, v11, s0
	v_lshlrev_b64_e32 v[10:11], 2, v[13:14]
	s_delay_alu instid0(VALU_DEP_3) | instskip(SKIP_1) | instid1(VALU_DEP_3)
	v_add_co_u32 v13, s0, v0, v8
	s_wait_alu 0xf1ff
	v_add_co_ci_u32_e64 v14, s0, v12, v9, s0
	v_mad_co_u64_u32 v[8:9], null, s19, v7, v[4:5]
	v_mov_b32_e32 v16, v18
	v_add_nc_u32_e32 v22, 0x20f, v3
	v_mov_b32_e32 v4, v24
	v_add_co_u32 v17, s0, v0, v10
	s_wait_alu 0xf1ff
	v_add_co_ci_u32_e64 v18, s0, v12, v11, s0
	v_lshlrev_b64_e32 v[10:11], 2, v[15:16]
	v_mad_co_u64_u32 v[15:16], null, s18, v22, 0
	v_mov_b32_e32 v21, v8
	v_mad_co_u64_u32 v[8:9], null, s19, v25, v[4:5]
	v_add_nc_u32_e32 v9, 0x66, v3
	v_add_co_u32 v25, s0, v0, v10
	s_wait_alu 0xf1ff
	v_add_co_ci_u32_e64 v26, s0, v12, v11, s0
	v_lshlrev_b64_e32 v[10:11], 2, v[20:21]
	v_mov_b32_e32 v4, v16
	v_mad_co_u64_u32 v[19:20], null, s18, v9, 0
	v_mov_b32_e32 v24, v8
	v_add_nc_u32_e32 v8, 0x154, v3
	s_delay_alu instid0(VALU_DEP_4)
	v_mad_co_u64_u32 v[21:22], null, s19, v22, v[4:5]
	v_add_co_u32 v29, s0, v0, v10
	v_mov_b32_e32 v4, v20
	s_wait_alu 0xf1ff
	v_add_co_ci_u32_e64 v30, s0, v12, v11, s0
	v_lshlrev_b64_e32 v[10:11], 2, v[23:24]
	v_mov_b32_e32 v16, v21
	v_mad_co_u64_u32 v[20:21], null, s19, v9, v[4:5]
	v_mad_co_u64_u32 v[21:22], null, s18, v8, 0
	s_delay_alu instid0(VALU_DEP_4) | instskip(SKIP_3) | instid1(VALU_DEP_4)
	v_add_co_u32 v23, s0, v0, v10
	v_add_nc_u32_e32 v10, 0x242, v3
	s_wait_alu 0xf1ff
	v_add_co_ci_u32_e64 v24, s0, v12, v11, s0
	v_dual_mov_b32 v4, v22 :: v_dual_add_nc_u32 v11, 0x99, v3
	s_delay_alu instid0(VALU_DEP_3) | instskip(SKIP_2) | instid1(VALU_DEP_4)
	v_mad_co_u64_u32 v[27:28], null, s18, v10, 0
	v_lshlrev_b64_e32 v[15:16], 2, v[15:16]
	v_lshlrev_b64_e32 v[19:20], 2, v[19:20]
	v_mad_co_u64_u32 v[31:32], null, s19, v8, v[4:5]
	v_mad_co_u64_u32 v[32:33], null, s18, v11, 0
	v_mov_b32_e32 v4, v28
	v_add_nc_u32_e32 v8, 0x187, v3
	v_add_co_u32 v15, s0, v0, v15
	v_mov_b32_e32 v22, v31
	s_delay_alu instid0(VALU_DEP_4)
	v_mad_co_u64_u32 v[34:35], null, s19, v10, v[4:5]
	v_mov_b32_e32 v4, v33
	v_add_nc_u32_e32 v10, 0x275, v3
	v_mad_co_u64_u32 v[35:36], null, s18, v8, 0
	s_wait_alu 0xf1ff
	v_add_co_ci_u32_e64 v16, s0, v12, v16, s0
	v_mad_co_u64_u32 v[37:38], null, s19, v11, v[4:5]
	v_mad_co_u64_u32 v[38:39], null, s18, v10, 0
	v_add_co_u32 v40, s0, v0, v19
	v_mov_b32_e32 v4, v36
	s_wait_alu 0xf1ff
	v_add_co_ci_u32_e64 v41, s0, v12, v20, s0
	v_lshlrev_b64_e32 v[19:20], 2, v[21:22]
	v_mov_b32_e32 v28, v34
	v_mad_co_u64_u32 v[21:22], null, s19, v8, v[4:5]
	v_dual_mov_b32 v4, v39 :: v_dual_mov_b32 v33, v37
	s_delay_alu instid0(VALU_DEP_4)
	v_add_co_u32 v42, s0, v0, v19
	s_wait_alu 0xf1ff
	v_add_co_ci_u32_e64 v43, s0, v12, v20, s0
	v_lshlrev_b64_e32 v[19:20], 2, v[27:28]
	v_mad_co_u64_u32 v[27:28], null, s19, v10, v[4:5]
	v_mov_b32_e32 v36, v21
	v_lshlrev_b64_e32 v[31:32], 2, v[32:33]
	s_mov_b32 s4, exec_lo
	s_delay_alu instid0(VALU_DEP_4)
	v_add_co_u32 v33, s0, v0, v19
	s_wait_alu 0xf1ff
	v_add_co_ci_u32_e64 v34, s0, v12, v20, s0
	v_mov_b32_e32 v39, v27
	v_lshlrev_b64_e32 v[19:20], 2, v[35:36]
	v_add_co_u32 v31, s0, v0, v31
	s_wait_alu 0xf1ff
	v_add_co_ci_u32_e64 v32, s0, v12, v32, s0
	v_lshlrev_b64_e32 v[21:22], 2, v[38:39]
	s_delay_alu instid0(VALU_DEP_4) | instskip(SKIP_2) | instid1(VALU_DEP_3)
	v_add_co_u32 v35, s0, v0, v19
	s_wait_alu 0xf1ff
	v_add_co_ci_u32_e64 v36, s0, v12, v20, s0
                                        ; implicit-def: $vgpr39
	v_add_co_u32 v20, s0, v0, v21
	s_wait_alu 0xf1ff
	v_add_co_ci_u32_e64 v21, s0, v12, v22, s0
	s_clause 0xb
	global_load_b32 v8, v[13:14], off
	global_load_b32 v19, v[17:18], off
	;; [unrolled: 1-line block ×12, first 2 shown]
                                        ; implicit-def: $vgpr42
                                        ; implicit-def: $vgpr29
                                        ; implicit-def: $vgpr43
                                        ; implicit-def: $vgpr25
                                        ; implicit-def: $vgpr31
	v_cmpx_gt_u32_e32 34, v3
	s_cbranch_execz .LBB0_14
; %bb.13:
	v_add_nc_u32_e32 v31, 0x1ba, v3
	s_delay_alu instid0(VALU_DEP_1) | instskip(NEXT) | instid1(VALU_DEP_1)
	v_mad_co_u64_u32 v[25:26], null, s18, v31, 0
	v_dual_mov_b32 v16, v26 :: v_dual_add_nc_u32 v27, 0xcc, v3
	s_delay_alu instid0(VALU_DEP_1) | instskip(NEXT) | instid1(VALU_DEP_1)
	v_mad_co_u64_u32 v[20:21], null, s18, v27, 0
	v_dual_mov_b32 v13, v21 :: v_dual_add_nc_u32 v32, 0x2a8, v3
	s_delay_alu instid0(VALU_DEP_1) | instskip(SKIP_1) | instid1(VALU_DEP_2)
	v_mad_co_u64_u32 v[29:30], null, s18, v32, 0
	s_wait_loadcnt 0x8
	v_mad_co_u64_u32 v[26:27], null, s19, v27, v[13:14]
	s_delay_alu instid0(VALU_DEP_2) | instskip(SKIP_3) | instid1(VALU_DEP_2)
	v_mov_b32_e32 v21, v30
	s_wait_loadcnt 0x7
	v_mad_co_u64_u32 v[30:31], null, s19, v31, v[16:17]
	s_wait_loadcnt 0x4
	v_mad_co_u64_u32 v[31:32], null, s19, v32, v[21:22]
	s_delay_alu instid0(VALU_DEP_2) | instskip(NEXT) | instid1(VALU_DEP_1)
	v_dual_mov_b32 v21, v26 :: v_dual_mov_b32 v26, v30
	v_lshlrev_b64_e32 v[20:21], 2, v[20:21]
	s_delay_alu instid0(VALU_DEP_3) | instskip(NEXT) | instid1(VALU_DEP_3)
	v_mov_b32_e32 v30, v31
	v_lshlrev_b64_e32 v[25:26], 2, v[25:26]
	s_delay_alu instid0(VALU_DEP_3) | instskip(NEXT) | instid1(VALU_DEP_3)
	v_add_co_u32 v20, s0, v0, v20
	v_lshlrev_b64_e32 v[29:30], 2, v[29:30]
	s_wait_alu 0xf1ff
	v_add_co_ci_u32_e64 v21, s0, v12, v21, s0
	s_delay_alu instid0(VALU_DEP_4)
	v_add_co_u32 v31, s0, v0, v25
	s_wait_alu 0xf1ff
	v_add_co_ci_u32_e64 v32, s0, v12, v26, s0
	v_add_co_u32 v26, s0, v0, v29
	s_wait_alu 0xf1ff
	v_add_co_ci_u32_e64 v27, s0, v12, v30, s0
	s_clause 0x2
	global_load_b32 v25, v[20:21], off
	global_load_b32 v29, v[31:32], off
	;; [unrolled: 1-line block ×3, first 2 shown]
	s_wait_loadcnt 0x2
	v_lshrrev_b32_e32 v31, 16, v25
	s_wait_loadcnt 0x1
	v_lshrrev_b32_e32 v43, 16, v29
	;; [unrolled: 2-line block ×3, first 2 shown]
.LBB0_14:
	s_wait_alu 0xfffe
	s_or_b32 exec_lo, exec_lo, s4
	s_wait_loadcnt 0xb
	v_lshrrev_b32_e32 v16, 16, v8
	s_wait_loadcnt 0xa
	v_lshrrev_b32_e32 v50, 16, v19
	;; [unrolled: 2-line block ×12, first 2 shown]
.LBB0_15:
	s_or_b32 exec_lo, exec_lo, s1
	v_add_f16_e32 v0, v19, v28
	v_add_f16_e32 v12, v8, v19
	v_sub_f16_e32 v27, v50, v45
	v_add_f16_e32 v26, v17, v18
	v_add_f16_e32 v30, v22, v24
	v_fmac_f16_e32 v8, -0.5, v0
	v_add_f16_e32 v0, v14, v17
	v_add_f16_e32 v13, v12, v28
	v_fmac_f16_e32 v14, -0.5, v26
	v_sub_f16_e32 v12, v51, v47
	v_fmamk_f16 v26, v27, 0x3aee, v8
	v_fmac_f16_e32 v8, 0xbaee, v27
	v_add_f16_e32 v27, v0, v18
	v_add_f16_e32 v0, v15, v22
	v_fmac_f16_e32 v15, -0.5, v30
	v_sub_f16_e32 v35, v49, v48
	v_fmamk_f16 v30, v12, 0x3aee, v14
	v_fmac_f16_e32 v14, 0xbaee, v12
	v_add_f16_e32 v33, v0, v24
	v_add_f16_e32 v0, v4, v10
	;; [unrolled: 1-line block ×4, first 2 shown]
	v_fmamk_f16 v34, v35, 0x3aee, v15
	v_fmac_f16_e32 v15, 0xbaee, v35
	v_fmac_f16_e32 v23, -0.5, v0
	v_sub_f16_e32 v0, v46, v44
	v_add_f16_e32 v35, v12, v10
	v_add_f16_e32 v12, v25, v29
	v_fmac_f16_e32 v25, -0.5, v36
	v_sub_f16_e32 v40, v43, v39
	v_fmamk_f16 v36, v0, 0x3aee, v23
	v_fmac_f16_e32 v23, 0xbaee, v0
	v_mad_u32_u24 v0, v3, 6, 0
	v_add_f16_e32 v37, v12, v42
	v_mad_i32_i24 v12, v7, 6, 0
	v_fmamk_f16 v38, v40, 0x3aee, v25
	v_fmac_f16_e32 v25, 0xbaee, v40
	v_mad_i32_i24 v40, v9, 6, 0
	v_cmp_gt_u32_e64 s1, 34, v3
	ds_store_b16 v0, v13
	ds_store_b16 v0, v26 offset:2
	ds_store_b16 v0, v8 offset:4
	ds_store_b16 v12, v27
	ds_store_b16 v12, v30 offset:2
	ds_store_b16 v12, v14 offset:4
	v_mad_i32_i24 v12, v11, 6, 0
	ds_store_b16 v40, v33
	ds_store_b16 v40, v34 offset:2
	ds_store_b16 v40, v15 offset:4
	ds_store_b16 v12, v35
	ds_store_b16 v12, v36 offset:2
	ds_store_b16 v12, v23 offset:4
	s_and_saveexec_b32 s0, s1
	s_cbranch_execz .LBB0_17
; %bb.16:
	ds_store_b16 v0, v37 offset:1224
	ds_store_b16 v0, v38 offset:1226
	;; [unrolled: 1-line block ×3, first 2 shown]
.LBB0_17:
	s_wait_alu 0xfffe
	s_or_b32 exec_lo, exec_lo, s0
	v_mul_i32_i24_e32 v53, 6, v7
	v_mul_i32_i24_e32 v52, 6, v9
	;; [unrolled: 1-line block ×3, first 2 shown]
	v_cmp_gt_u32_e64 s0, 42, v3
	global_wb scope:SCOPE_SE
	s_wait_dscnt 0x0
	s_wait_kmcnt 0x0
	s_barrier_signal -1
	s_barrier_wait -1
	global_inv scope:SCOPE_SE
                                        ; implicit-def: $vgpr40
                                        ; implicit-def: $vgpr41
	s_and_saveexec_b32 s4, s0
	s_cbranch_execz .LBB0_19
; %bb.18:
	v_lshlrev_b32_e32 v8, 2, v3
	s_delay_alu instid0(VALU_DEP_1)
	v_sub_nc_u32_e32 v40, v0, v8
	ds_load_u16 v13, v40
	ds_load_u16 v26, v40 offset:84
	ds_load_u16 v8, v40 offset:168
	;; [unrolled: 1-line block ×16, first 2 shown]
.LBB0_19:
	s_wait_alu 0xfffe
	s_or_b32 exec_lo, exec_lo, s4
	v_add_f16_e32 v54, v50, v45
	v_add_f16_e32 v55, v51, v47
	v_add_f16_e32 v50, v16, v50
	v_add_f16_e32 v51, v20, v51
	v_sub_f16_e32 v17, v17, v18
	v_fmac_f16_e32 v16, -0.5, v54
	v_add_f16_e32 v54, v49, v48
	v_fmac_f16_e32 v20, -0.5, v55
	v_add_f16_e32 v18, v21, v49
	v_add_f16_e32 v47, v51, v47
	v_sub_f16_e32 v22, v22, v24
	v_fmac_f16_e32 v21, -0.5, v54
	v_fmamk_f16 v57, v17, 0xbaee, v20
	v_fmac_f16_e32 v20, 0x3aee, v17
	v_add_f16_e32 v51, v18, v48
	v_add_f16_e32 v17, v46, v44
	;; [unrolled: 1-line block ×3, first 2 shown]
	v_sub_f16_e32 v28, v19, v28
	v_fmamk_f16 v59, v22, 0xbaee, v21
	v_fmac_f16_e32 v21, 0x3aee, v22
	v_add_f16_e32 v22, v32, v46
	v_fmac_f16_e32 v32, -0.5, v17
	v_sub_f16_e32 v4, v4, v10
	v_add_f16_e32 v10, v31, v43
	v_fmac_f16_e32 v31, -0.5, v18
	v_sub_f16_e32 v17, v29, v42
	v_add_f16_e32 v19, v50, v45
	v_fmamk_f16 v50, v28, 0xbaee, v16
	v_fmac_f16_e32 v16, 0x3aee, v28
	v_add_f16_e32 v42, v22, v44
	v_fmamk_f16 v43, v4, 0xbaee, v32
	v_fmac_f16_e32 v32, 0x3aee, v4
	;; [unrolled: 3-line block ×3, first 2 shown]
	v_add_nc_u32_e32 v4, 0, v53
	v_add_nc_u32_e32 v10, 0, v52
	global_wb scope:SCOPE_SE
	s_wait_dscnt 0x0
	s_barrier_signal -1
	s_barrier_wait -1
	global_inv scope:SCOPE_SE
	ds_store_b16 v0, v19
	ds_store_b16 v0, v50 offset:2
	ds_store_b16 v0, v16 offset:4
	v_add_nc_u32_e32 v12, 0, v12
	ds_store_b16 v4, v47
	ds_store_b16 v4, v57 offset:2
	ds_store_b16 v4, v20 offset:4
	ds_store_b16 v10, v51
	ds_store_b16 v10, v59 offset:2
	ds_store_b16 v10, v21 offset:4
	;; [unrolled: 3-line block ×3, first 2 shown]
	s_and_saveexec_b32 s4, s1
	s_cbranch_execz .LBB0_21
; %bb.20:
	ds_store_b16 v0, v60 offset:1224
	ds_store_b16 v0, v61 offset:1226
	;; [unrolled: 1-line block ×3, first 2 shown]
.LBB0_21:
	s_wait_alu 0xfffe
	s_or_b32 exec_lo, exec_lo, s4
	v_lshl_add_u32 v0, v3, 1, 0
	global_wb scope:SCOPE_SE
	s_wait_dscnt 0x0
	s_barrier_signal -1
	s_barrier_wait -1
	global_inv scope:SCOPE_SE
                                        ; implicit-def: $vgpr62
                                        ; implicit-def: $vgpr63
	s_and_saveexec_b32 s1, s0
	s_cbranch_execz .LBB0_23
; %bb.22:
	ds_load_u16 v19, v0
	ds_load_u16 v50, v0 offset:84
	ds_load_u16 v16, v0 offset:168
	;; [unrolled: 1-line block ×16, first 2 shown]
.LBB0_23:
	s_wait_alu 0xfffe
	s_or_b32 exec_lo, exec_lo, s1
	v_and_b32_e32 v4, 0xff, v3
	s_delay_alu instid0(VALU_DEP_1) | instskip(NEXT) | instid1(VALU_DEP_1)
	v_mul_lo_u16 v4, 0xab, v4
	v_lshrrev_b16 v4, 9, v4
	s_delay_alu instid0(VALU_DEP_1) | instskip(SKIP_1) | instid1(VALU_DEP_2)
	v_mul_lo_u16 v10, v4, 3
	v_and_b32_e32 v4, 0xffff, v4
	v_sub_nc_u16 v10, v3, v10
	s_delay_alu instid0(VALU_DEP_1) | instskip(NEXT) | instid1(VALU_DEP_1)
	v_and_b32_e32 v80, 0xff, v10
	v_lshlrev_b32_e32 v10, 6, v80
	s_clause 0x3
	global_load_b128 v[64:67], v10, s[8:9]
	global_load_b128 v[68:71], v10, s[8:9] offset:16
	global_load_b128 v[72:75], v10, s[8:9] offset:32
	global_load_b128 v[76:79], v10, s[8:9] offset:48
	global_wb scope:SCOPE_SE
	s_wait_loadcnt_dscnt 0x0
	s_barrier_signal -1
	s_barrier_wait -1
	global_inv scope:SCOPE_SE
	v_lshrrev_b32_e32 v10, 16, v64
	v_lshrrev_b32_e32 v12, 16, v65
	;; [unrolled: 1-line block ×16, first 2 shown]
	v_mul_f16_e32 v82, v50, v10
	v_mul_f16_e32 v56, v26, v10
	;; [unrolled: 1-line block ×32, first 2 shown]
	v_fma_f16 v58, v26, v64, -v82
	v_fmac_f16_e32 v56, v50, v64
	v_fma_f16 v55, v8, v65, -v83
	v_fmac_f16_e32 v54, v16, v65
	;; [unrolled: 2-line block ×16, first 2 shown]
	v_lshlrev_b32_e32 v8, 1, v80
	s_and_saveexec_b32 s1, s0
	s_cbranch_execz .LBB0_25
; %bb.24:
	s_delay_alu instid0(VALU_DEP_2)
	v_sub_f16_e32 v60, v56, v52
	v_add_f16_e32 v35, v58, v59
	v_sub_f16_e32 v42, v54, v53
	v_add_f16_e32 v33, v55, v57
	v_sub_f16_e32 v43, v48, v49
	v_mul_f16_e32 v62, 0xb1e1, v60
	v_add_f16_e32 v34, v50, v51
	v_mul_f16_e32 v63, 0x35c8, v42
	v_sub_f16_e32 v40, v44, v45
	v_mul_f16_e32 v64, 0xb836, v43
	v_fmamk_f16 v74, v35, 0xbbdd, v62
	v_fma_f16 v62, v35, 0xbbdd, -v62
	v_fmamk_f16 v75, v33, 0x3b76, v63
	v_add_f16_e32 v31, v46, v47
	v_mul_f16_e32 v65, 0x3964, v40
	v_add_f16_e32 v74, v13, v74
	v_mul_f16_e32 v70, 0xb836, v60
	v_fmamk_f16 v76, v34, 0xbacd, v64
	v_fma_f16 v63, v33, 0x3b76, -v63
	v_add_f16_e32 v62, v13, v62
	v_add_f16_e32 v74, v75, v74
	v_sub_f16_e32 v41, v28, v29
	v_mul_f16_e32 v71, 0x3b29, v42
	v_fmamk_f16 v77, v31, 0x39e9, v65
	v_fma_f16 v64, v34, 0xbacd, -v64
	v_add_f16_e32 v74, v76, v74
	v_fmamk_f16 v75, v35, 0xbacd, v70
	v_add_f16_e32 v62, v63, v62
	v_add_f16_e32 v14, v13, v58
	;; [unrolled: 1-line block ×3, first 2 shown]
	v_sub_f16_e32 v37, v22, v24
	v_mul_f16_e32 v66, 0xba62, v41
	v_mul_f16_e32 v72, 0xbbf7, v43
	v_fma_f16 v65, v31, 0x39e9, -v65
	v_add_f16_e32 v63, v77, v74
	v_fmamk_f16 v74, v33, 0x3722, v71
	v_add_f16_e32 v75, v13, v75
	v_add_f16_e32 v62, v64, v62
	;; [unrolled: 1-line block ×4, first 2 shown]
	v_sub_f16_e32 v38, v17, v18
	v_mul_f16_e32 v67, 0x3b29, v37
	v_mul_f16_e32 v73, 0x3a62, v40
	v_fmamk_f16 v78, v32, 0xb8d2, v66
	v_fma_f16 v66, v32, 0xb8d2, -v66
	v_fmamk_f16 v64, v34, 0x2de8, v72
	v_add_f16_e32 v74, v74, v75
	v_add_f16_e32 v62, v65, v62
	;; [unrolled: 1-line block ×4, first 2 shown]
	v_sub_f16_e32 v36, v10, v12
	v_mul_f16_e32 v68, 0xbbb2, v38
	v_fmamk_f16 v79, v23, 0x3722, v67
	v_fma_f16 v67, v23, 0x3722, -v67
	v_add_f16_e32 v63, v78, v63
	v_fmamk_f16 v65, v31, 0xb8d2, v73
	v_add_f16_e32 v64, v64, v74
	v_add_f16_e32 v62, v66, v62
	v_mul_f16_e32 v66, 0xb5c8, v41
	v_add_f16_e32 v61, v14, v46
	v_add_f16_e32 v14, v15, v16
	v_mul_f16_e32 v69, 0x3bf7, v36
	v_fmamk_f16 v80, v25, 0xb461, v68
	v_add_f16_e32 v63, v79, v63
	v_add_f16_e32 v62, v67, v62
	v_fma_f16 v67, v25, 0xb461, -v68
	v_add_f16_e32 v64, v65, v64
	v_fmamk_f16 v65, v32, 0x3b76, v66
	v_mul_f16_e32 v68, 0xb1e1, v37
	v_add_f16_e32 v63, v80, v63
	v_fmamk_f16 v74, v14, 0x2de8, v69
	v_fma_f16 v70, v35, 0xbacd, -v70
	v_add_f16_e32 v62, v67, v62
	v_add_f16_e32 v64, v65, v64
	v_fmamk_f16 v65, v23, 0xbbdd, v68
	v_mul_f16_e32 v67, 0x3964, v38
	v_add_f16_e32 v63, v74, v63
	v_add_f16_e32 v70, v13, v70
	v_fma_f16 v71, v33, 0x3722, -v71
	v_fma_f16 v69, v14, 0x2de8, -v69
	v_add_f16_e32 v64, v65, v64
	v_fmamk_f16 v65, v25, 0x39e9, v67
	v_mul_f16_e32 v74, 0xba62, v60
	v_add_f16_e32 v70, v71, v70
	v_fma_f16 v71, v34, 0x2de8, -v72
	v_add_f16_e32 v62, v69, v62
	v_add_f16_e32 v64, v65, v64
	v_fmamk_f16 v65, v35, 0xb8d2, v74
	v_mul_f16_e32 v69, 0x3bb2, v42
	v_add_f16_e32 v70, v71, v70
	v_fma_f16 v71, v31, 0xb8d2, -v73
	v_mul_f16_e32 v72, 0xbbb2, v36
	v_add_f16_e32 v65, v13, v65
	v_fmamk_f16 v73, v33, 0xb461, v69
	v_mul_f16_e32 v75, 0xb5c8, v43
	v_add_f16_e32 v70, v71, v70
	v_fma_f16 v66, v32, 0x3b76, -v66
	v_fmamk_f16 v71, v14, 0xb461, v72
	v_add_f16_e32 v65, v73, v65
	v_fmamk_f16 v73, v34, 0x3b76, v75
	v_mul_f16_e32 v76, 0xb836, v40
	v_add_f16_e32 v66, v66, v70
	v_fma_f16 v68, v23, 0xbbdd, -v68
	v_add_f16_e32 v64, v71, v64
	v_add_f16_e32 v65, v73, v65
	v_fmamk_f16 v70, v31, 0xbacd, v76
	v_mul_f16_e32 v71, 0x3bf7, v41
	v_add_f16_e32 v66, v68, v66
	v_fma_f16 v68, v35, 0xb8d2, -v74
	v_fma_f16 v67, v25, 0x39e9, -v67
	v_add_f16_e32 v65, v70, v65
	v_fmamk_f16 v70, v32, 0x2de8, v71
	v_mul_f16_e32 v73, 0xb964, v37
	v_add_f16_e32 v68, v13, v68
	v_fma_f16 v69, v33, 0xb461, -v69
	v_add_f16_e32 v66, v67, v66
	v_add_f16_e32 v65, v70, v65
	v_fmamk_f16 v67, v23, 0x39e9, v73
	v_mul_f16_e32 v70, 0xb1e1, v38
	v_add_f16_e32 v68, v69, v68
	v_fma_f16 v69, v34, 0x3b76, -v75
	v_fma_f16 v72, v14, 0xb461, -v72
	v_add_f16_e32 v65, v67, v65
	v_fmamk_f16 v67, v25, 0xbbdd, v70
	v_mul_f16_e32 v74, 0xbbb2, v60
	v_add_f16_e32 v68, v69, v68
	v_fma_f16 v69, v31, 0xbacd, -v76
	v_add_f16_e32 v66, v72, v66
	v_add_f16_e32 v65, v67, v65
	v_fmamk_f16 v67, v35, 0xb461, v74
	v_mul_f16_e32 v72, 0x3836, v42
	v_add_f16_e32 v68, v69, v68
	v_fma_f16 v69, v32, 0x2de8, -v71
	v_mul_f16_e32 v71, 0x3b29, v36
	v_add_f16_e32 v67, v13, v67
	v_fmamk_f16 v75, v33, 0xbacd, v72
	v_mul_f16_e32 v76, 0x3964, v43
	v_add_f16_e32 v68, v69, v68
	v_fma_f16 v69, v23, 0x39e9, -v73
	v_fmamk_f16 v73, v14, 0x3722, v71
	v_add_f16_e32 v67, v75, v67
	v_fmamk_f16 v75, v34, 0x39e9, v76
	v_mul_f16_e32 v77, 0xbb29, v40
	v_add_f16_e32 v68, v69, v68
	v_fma_f16 v69, v25, 0xbbdd, -v70
	v_add_f16_e32 v65, v73, v65
	v_add_f16_e32 v67, v75, v67
	v_fmamk_f16 v70, v31, 0x3722, v77
	v_mul_f16_e32 v73, 0xb1e1, v41
	v_add_f16_e32 v68, v69, v68
	v_fma_f16 v69, v14, 0x3722, -v71
	v_fma_f16 v71, v35, 0xb461, -v74
	v_add_f16_e32 v67, v70, v67
	v_fmamk_f16 v70, v32, 0xbbdd, v73
	v_mul_f16_e32 v74, 0x3bf7, v37
	v_add_f16_e32 v68, v69, v68
	v_add_f16_e32 v69, v13, v71
	v_fma_f16 v71, v33, 0xbacd, -v72
	v_add_f16_e32 v67, v70, v67
	v_fmamk_f16 v70, v23, 0x2de8, v74
	v_mul_f16_e32 v72, 0xbbf7, v60
	v_mul_f16_e32 v79, 0x3bb2, v43
	v_add_f16_e32 v69, v71, v69
	v_fma_f16 v71, v34, 0x39e9, -v76
	v_add_f16_e32 v67, v70, v67
	v_fmamk_f16 v70, v35, 0x2de8, v72
	v_mul_f16_e32 v76, 0xb1e1, v42
	v_mul_f16_e32 v75, 0xb5c8, v38
	v_add_f16_e32 v69, v71, v69
	v_fma_f16 v71, v31, 0x3722, -v77
	v_add_f16_e32 v70, v13, v70
	v_fmamk_f16 v77, v33, 0xbbdd, v76
	v_fmamk_f16 v78, v25, 0x3b76, v75
	v_fma_f16 v72, v35, 0x2de8, -v72
	v_add_f16_e32 v69, v71, v69
	v_fma_f16 v71, v32, 0xbbdd, -v73
	v_add_f16_e32 v70, v77, v70
	v_fmamk_f16 v73, v34, 0xb461, v79
	v_mul_f16_e32 v77, 0x35c8, v40
	v_add_f16_e32 v67, v78, v67
	v_add_f16_e32 v69, v71, v69
	v_fma_f16 v71, v23, 0x2de8, -v74
	v_add_f16_e32 v70, v73, v70
	v_fmamk_f16 v73, v31, 0x3b76, v77
	v_mul_f16_e32 v74, 0xbb29, v41
	v_mul_f16_e32 v78, 0xba62, v36
	v_add_f16_e32 v69, v71, v69
	v_fma_f16 v71, v25, 0x3b76, -v75
	v_add_f16_e32 v70, v73, v70
	v_fmamk_f16 v73, v32, 0x3722, v74
	v_mul_f16_e32 v75, 0xb836, v37
	v_fmamk_f16 v80, v14, 0xb8d2, v78
	v_add_f16_e32 v69, v71, v69
	v_add_f16_e32 v72, v13, v72
	v_add_f16_e32 v70, v73, v70
	v_fmamk_f16 v71, v23, 0xbacd, v75
	v_mul_f16_e32 v73, 0x3a62, v38
	v_add_f16_e32 v67, v80, v67
	v_fma_f16 v76, v33, 0xbbdd, -v76
	v_fma_f16 v78, v14, 0xb8d2, -v78
	v_add_f16_e32 v70, v71, v70
	v_fmamk_f16 v71, v25, 0xb8d2, v73
	v_mul_f16_e32 v80, 0xbb29, v60
	v_add_f16_e32 v72, v76, v72
	v_fma_f16 v76, v34, 0xb461, -v79
	v_add_f16_e32 v69, v78, v69
	v_add_f16_e32 v70, v71, v70
	v_fmamk_f16 v71, v35, 0x3722, v80
	v_mul_f16_e32 v78, 0xba62, v42
	v_add_f16_e32 v72, v76, v72
	v_fma_f16 v76, v31, 0x3b76, -v77
	v_mul_f16_e32 v77, 0x3964, v36
	v_add_f16_e32 v71, v13, v71
	v_fmamk_f16 v79, v33, 0xb8d2, v78
	v_mul_f16_e32 v81, 0x31e1, v43
	v_add_f16_e32 v72, v76, v72
	v_fma_f16 v74, v32, 0x3722, -v74
	v_fmamk_f16 v76, v14, 0x39e9, v77
	v_add_f16_e32 v71, v79, v71
	v_fmamk_f16 v79, v34, 0xbbdd, v81
	v_mul_f16_e32 v82, 0x3bb2, v40
	v_add_f16_e32 v72, v74, v72
	v_fma_f16 v74, v23, 0xbacd, -v75
	v_add_f16_e32 v70, v76, v70
	v_add_f16_e32 v71, v79, v71
	v_fmamk_f16 v75, v31, 0xb461, v82
	v_mul_f16_e32 v76, 0x3964, v41
	v_add_f16_e32 v72, v74, v72
	v_fma_f16 v74, v35, 0x3722, -v80
	v_fma_f16 v73, v25, 0xb8d2, -v73
	v_add_f16_e32 v71, v75, v71
	v_fmamk_f16 v75, v32, 0x39e9, v76
	v_mul_f16_e32 v79, 0xb5c8, v37
	v_add_f16_e32 v74, v13, v74
	v_fma_f16 v78, v33, 0xb8d2, -v78
	v_add_f16_e32 v72, v73, v72
	v_add_f16_e32 v71, v75, v71
	v_fmamk_f16 v73, v23, 0x3b76, v79
	v_mul_f16_e32 v75, 0xbbf7, v38
	v_add_f16_e32 v74, v78, v74
	v_fma_f16 v78, v34, 0xbbdd, -v81
	v_fma_f16 v77, v14, 0x39e9, -v77
	v_add_f16_e32 v71, v73, v71
	v_mul_f16_e32 v73, 0xb964, v60
	v_fmamk_f16 v80, v25, 0x2de8, v75
	v_add_f16_e32 v74, v78, v74
	v_fma_f16 v78, v31, 0xb461, -v82
	v_add_f16_e32 v72, v77, v72
	v_fmamk_f16 v77, v35, 0x39e9, v73
	v_mul_f16_e32 v81, 0xbbf7, v42
	v_add_f16_e32 v71, v80, v71
	v_add_f16_e32 v74, v78, v74
	v_fma_f16 v76, v32, 0x39e9, -v76
	v_add_f16_e32 v77, v13, v77
	v_fmamk_f16 v78, v33, 0x2de8, v81
	v_mul_f16_e32 v80, 0xba62, v43
	v_mul_f16_e32 v82, 0xb836, v36
	v_add_f16_e32 v74, v76, v74
	v_fma_f16 v76, v23, 0x3b76, -v79
	v_add_f16_e32 v77, v78, v77
	v_fmamk_f16 v78, v34, 0xb8d2, v80
	v_mul_f16_e32 v79, 0xb1e1, v40
	v_fma_f16 v75, v25, 0x2de8, -v75
	v_add_f16_e32 v74, v76, v74
	v_add_f16_e32 v61, v61, v30
	;; [unrolled: 1-line block ×3, first 2 shown]
	v_fmamk_f16 v77, v31, 0xbbdd, v79
	v_mul_f16_e32 v78, 0x3836, v41
	v_fmamk_f16 v83, v14, 0xbacd, v82
	v_add_f16_e32 v74, v75, v74
	v_add_f16_e32 v61, v61, v26
	;; [unrolled: 1-line block ×3, first 2 shown]
	v_fmamk_f16 v76, v32, 0xbacd, v78
	v_mul_f16_e32 v77, 0x3bb2, v37
	v_add_f16_e32 v71, v83, v71
	v_mul_f16_e32 v83, 0x3b29, v38
	v_add_f16_e32 v61, v61, v20
	v_add_f16_e32 v75, v76, v75
	v_fmamk_f16 v76, v23, 0xb461, v77
	v_mul_f16_e32 v60, 0xb5c8, v60
	v_mul_f16_e32 v42, 0xb964, v42
	v_add_f16_e32 v61, v61, v15
	v_fma_f16 v73, v35, 0x39e9, -v73
	v_add_f16_e32 v75, v76, v75
	v_fmamk_f16 v76, v25, 0x3722, v83
	v_mul_f16_e32 v43, 0xbb29, v43
	v_add_f16_e32 v61, v61, v16
	v_add_f16_e32 v73, v13, v73
	v_fma_f16 v81, v33, 0x2de8, -v81
	v_add_f16_e32 v75, v76, v75
	v_fma_f16 v76, v35, 0x3b76, -v60
	v_fmamk_f16 v35, v35, 0x3b76, v60
	v_add_f16_e32 v61, v61, v21
	v_mul_f16_e32 v40, 0xbbf7, v40
	v_add_f16_e32 v73, v81, v73
	v_add_f16_e32 v60, v13, v76
	v_fma_f16 v76, v33, 0x39e9, -v42
	v_add_f16_e32 v13, v13, v35
	v_fmamk_f16 v33, v33, 0x39e9, v42
	v_fma_f16 v42, v34, 0x3722, -v43
	v_fma_f16 v80, v34, 0xb8d2, -v80
	v_add_f16_e32 v35, v76, v60
	v_add_f16_e32 v61, v61, v27
	;; [unrolled: 1-line block ×3, first 2 shown]
	v_fmamk_f16 v33, v34, 0x3722, v43
	v_mul_f16_e32 v41, 0xbbb2, v41
	v_add_f16_e32 v34, v42, v35
	v_fma_f16 v35, v31, 0x2de8, -v40
	v_add_f16_e32 v73, v80, v73
	v_fma_f16 v79, v31, 0xbbdd, -v79
	v_add_f16_e32 v61, v61, v39
	v_add_f16_e32 v13, v33, v13
	v_fmamk_f16 v31, v31, 0x2de8, v40
	v_add_f16_e32 v33, v35, v34
	v_fma_f16 v34, v32, 0xb461, -v41
	v_mul_f16_e32 v35, 0xba62, v37
	v_add_f16_e32 v73, v79, v73
	v_fma_f16 v78, v32, 0xbacd, -v78
	v_add_f16_e32 v61, v61, v47
	v_add_f16_e32 v13, v31, v13
	v_fmamk_f16 v31, v32, 0xb461, v41
	v_add_f16_e32 v32, v34, v33
	v_fma_f16 v33, v23, 0xb8d2, -v35
	v_mul_f16_e32 v34, 0xb836, v38
	;; [unrolled: 8-line block ×3, first 2 shown]
	v_mul_f16_e32 v81, 0x35c8, v36
	v_add_f16_e32 v37, v42, v60
	v_fma_f16 v38, v25, 0x3722, -v83
	v_add_f16_e32 v61, v61, v57
	v_add_f16_e32 v13, v23, v13
	v_fmamk_f16 v23, v25, 0xbacd, v34
	v_add_f16_e32 v25, v32, v31
	v_mul_u32_u24_e32 v31, 0x66, v4
	v_fma_f16 v32, v14, 0xbbdd, -v35
	v_add_f16_e32 v33, v38, v37
	v_fma_f16 v34, v14, 0x3b76, -v81
	v_fma_f16 v82, v14, 0xbacd, -v82
	v_add_f16_e32 v61, v61, v59
	v_fmamk_f16 v80, v14, 0x3b76, v81
	v_add_f16_e32 v13, v23, v13
	v_fmamk_f16 v14, v14, 0xbbdd, v35
	v_add3_u32 v23, 0, v31, v8
	v_add_f16_e32 v25, v32, v25
	v_add_f16_e32 v31, v34, v33
	;; [unrolled: 1-line block ×5, first 2 shown]
	ds_store_b16 v23, v61
	ds_store_b16 v23, v25 offset:6
	ds_store_b16 v23, v31 offset:12
	;; [unrolled: 1-line block ×16, first 2 shown]
.LBB0_25:
	s_wait_alu 0xfffe
	s_or_b32 exec_lo, exec_lo, s1
	v_lshl_add_u32 v13, v9, 1, 0
	global_wb scope:SCOPE_SE
	s_wait_dscnt 0x0
	s_barrier_signal -1
	s_barrier_wait -1
	global_inv scope:SCOPE_SE
	ds_load_u16 v35, v13
	ds_load_u16 v32, v0 offset:816
	v_lshl_add_u32 v14, v7, 1, 0
	ds_load_u16 v31, v0 offset:714
	ds_load_u16 v40, v0 offset:612
	;; [unrolled: 1-line block ×5, first 2 shown]
	ds_load_u16 v25, v0
	ds_load_u16 v23, v14
	ds_load_u16 v33, v0 offset:1326
	ds_load_u16 v41, v0 offset:1224
	ds_load_u16 v36, v0 offset:1122
	ds_load_u16 v43, v0 offset:1020
	ds_load_u16 v38, v0 offset:918
	v_mul_u32_u24_e32 v60, 6, v3
	global_wb scope:SCOPE_SE
	s_wait_dscnt 0x0
	s_barrier_signal -1
	s_barrier_wait -1
	global_inv scope:SCOPE_SE
	s_and_saveexec_b32 s1, s0
	s_cbranch_execz .LBB0_27
; %bb.26:
	v_add_f16_e32 v61, v19, v56
	v_sub_f16_e32 v58, v58, v59
	v_add_f16_e32 v59, v54, v53
	v_add_f16_e32 v56, v56, v52
	v_sub_f16_e32 v55, v55, v57
	v_add_f16_e32 v54, v61, v54
	v_mul_f16_e32 v57, 0xb5c8, v58
	v_mul_f16_e32 v61, 0xb964, v58
	;; [unrolled: 1-line block ×4, first 2 shown]
	v_add_f16_e32 v54, v54, v48
	v_mul_f16_e32 v64, 0xbbb2, v58
	v_mul_f16_e32 v65, 0xba62, v58
	;; [unrolled: 1-line block ×4, first 2 shown]
	v_add_f16_e32 v54, v54, v44
	v_mul_f16_e32 v67, 0xb964, v55
	v_mul_f16_e32 v68, 0xbbf7, v55
	v_fmamk_f16 v72, v56, 0x3b76, v57
	v_fma_f16 v57, v56, 0x3b76, -v57
	v_add_f16_e32 v54, v54, v28
	v_fmamk_f16 v73, v56, 0x39e9, v61
	v_fma_f16 v61, v56, 0x39e9, -v61
	v_mul_f16_e32 v70, 0xb1e1, v55
	v_mul_f16_e32 v71, 0x3836, v55
	v_add_f16_e32 v54, v54, v22
	v_fmamk_f16 v74, v56, 0x3722, v62
	v_fma_f16 v62, v56, 0x3722, -v62
	v_fmamk_f16 v75, v56, 0x2de8, v63
	v_fma_f16 v63, v56, 0x2de8, -v63
	v_add_f16_e32 v54, v54, v17
	v_fmamk_f16 v76, v56, 0xb461, v64
	v_fma_f16 v64, v56, 0xb461, -v64
	v_fmamk_f16 v77, v56, 0xb8d2, v65
	v_fma_f16 v65, v56, 0xb8d2, -v65
	;; [unrolled: 5-line block ×4, first 2 shown]
	v_add_f16_e32 v54, v54, v18
	v_add_f16_e32 v72, v19, v72
	;; [unrolled: 1-line block ×23, first 2 shown]
	v_mul_f16_e32 v68, 0x3bb2, v55
	v_mul_f16_e32 v69, 0xba62, v55
	v_add_f16_e32 v53, v54, v53
	v_add_f16_e32 v54, v67, v57
	v_fma_f16 v67, v59, 0xbbdd, -v70
	v_sub_f16_e32 v50, v50, v51
	v_fmamk_f16 v81, v59, 0xb8d2, v69
	v_add_f16_e32 v52, v53, v52
	v_fmamk_f16 v53, v59, 0xbbdd, v70
	v_fma_f16 v70, v59, 0xbacd, -v71
	v_add_f16_e32 v63, v67, v63
	v_fmamk_f16 v67, v59, 0xb461, v68
	v_fma_f16 v68, v59, 0xb461, -v68
	v_fma_f16 v69, v59, 0xb8d2, -v69
	v_add_f16_e32 v64, v70, v64
	v_mul_f16_e32 v70, 0x3b29, v55
	v_mul_f16_e32 v55, 0x35c8, v55
	v_add_f16_e32 v65, v68, v65
	v_add_f16_e32 v48, v48, v49
	v_mul_f16_e32 v49, 0xbb29, v50
	v_fmamk_f16 v51, v59, 0x3722, v70
	v_fma_f16 v68, v59, 0x3722, -v70
	v_fmamk_f16 v70, v59, 0x3b76, v55
	v_fma_f16 v55, v59, 0x3b76, -v55
	v_add_f16_e32 v62, v69, v62
	v_fmamk_f16 v69, v59, 0xbacd, v71
	v_add_f16_e32 v59, v68, v66
	v_add_f16_e32 v66, v70, v79
	v_fmamk_f16 v68, v48, 0x3722, v49
	v_mul_f16_e32 v70, 0xba62, v50
	v_add_f16_e32 v19, v55, v19
	v_fma_f16 v49, v48, 0x3722, -v49
	v_mul_f16_e32 v55, 0x31e1, v50
	v_add_f16_e32 v56, v68, v56
	v_fmamk_f16 v68, v48, 0xb8d2, v70
	v_fma_f16 v70, v48, 0xb8d2, -v70
	v_add_f16_e32 v49, v49, v54
	v_fmamk_f16 v54, v48, 0xbbdd, v55
	v_mul_f16_e32 v71, 0x3bb2, v50
	v_fma_f16 v55, v48, 0xbbdd, -v55
	v_add_f16_e32 v57, v80, v73
	v_add_f16_e32 v61, v81, v74
	;; [unrolled: 1-line block ×3, first 2 shown]
	v_fma_f16 v70, v48, 0xb461, -v71
	v_add_f16_e32 v55, v55, v62
	v_mul_f16_e32 v62, 0xb5c8, v50
	v_add_f16_e32 v53, v53, v75
	v_add_f16_e32 v57, v68, v57
	v_add_f16_e32 v54, v54, v61
	v_fmamk_f16 v61, v48, 0xb461, v71
	v_mul_f16_e32 v68, 0x3964, v50
	v_add_f16_e32 v63, v70, v63
	v_fmamk_f16 v70, v48, 0x3b76, v62
	v_mul_f16_e32 v71, 0xbbf7, v50
	v_fma_f16 v62, v48, 0x3b76, -v62
	v_mul_f16_e32 v50, 0xb836, v50
	v_sub_f16_e32 v46, v46, v47
	v_add_f16_e32 v53, v61, v53
	v_fmamk_f16 v61, v48, 0x39e9, v68
	v_fma_f16 v68, v48, 0x39e9, -v68
	v_add_f16_e32 v62, v62, v65
	v_fma_f16 v47, v48, 0x2de8, -v71
	v_fmamk_f16 v65, v48, 0xbacd, v50
	v_add_f16_e32 v44, v44, v45
	v_mul_f16_e32 v45, 0xbbf7, v46
	v_add_f16_e32 v64, v68, v64
	v_fmamk_f16 v68, v48, 0x2de8, v71
	v_add_f16_e32 v47, v47, v59
	v_fma_f16 v48, v48, 0xbacd, -v50
	v_add_f16_e32 v50, v65, v66
	v_mul_f16_e32 v59, 0xb1e1, v46
	v_fmamk_f16 v65, v44, 0x2de8, v45
	v_fma_f16 v45, v44, 0x2de8, -v45
	v_add_f16_e32 v19, v48, v19
	v_mul_f16_e32 v48, 0x3bb2, v46
	v_fmamk_f16 v66, v44, 0xbbdd, v59
	v_add_f16_e32 v56, v65, v56
	v_add_f16_e32 v45, v45, v49
	v_fma_f16 v49, v44, 0xbbdd, -v59
	v_fmamk_f16 v59, v44, 0xb461, v48
	v_mul_f16_e32 v65, 0x35c8, v46
	v_fma_f16 v48, v44, 0xb461, -v48
	v_add_f16_e32 v57, v66, v57
	v_add_f16_e32 v49, v49, v58
	v_mul_f16_e32 v58, 0xbb29, v46
	v_add_f16_e32 v54, v59, v54
	v_fmamk_f16 v59, v44, 0x3b76, v65
	v_add_f16_e32 v48, v48, v55
	v_fma_f16 v55, v44, 0x3b76, -v65
	v_mul_f16_e32 v65, 0xb836, v46
	v_fmamk_f16 v66, v44, 0x3722, v58
	v_fma_f16 v58, v44, 0x3722, -v58
	v_add_f16_e32 v51, v51, v78
	v_add_f16_e32 v55, v55, v63
	v_fma_f16 v63, v44, 0xbacd, -v65
	v_sub_f16_e32 v30, v30, v39
	v_add_f16_e32 v58, v58, v64
	v_mul_f16_e32 v64, 0x3a62, v46
	v_mul_f16_e32 v46, 0x3964, v46
	v_add_f16_e32 v51, v68, v51
	v_add_f16_e32 v53, v59, v53
	v_fmamk_f16 v59, v44, 0xbacd, v65
	v_add_f16_e32 v62, v63, v62
	v_fmamk_f16 v39, v44, 0xb8d2, v64
	v_fma_f16 v63, v44, 0xb8d2, -v64
	v_fmamk_f16 v64, v44, 0x39e9, v46
	v_add_f16_e32 v28, v28, v29
	v_mul_f16_e32 v29, 0xbbb2, v30
	v_fma_f16 v44, v44, 0x39e9, -v46
	v_add_f16_e32 v39, v39, v51
	v_add_f16_e32 v46, v63, v47
	;; [unrolled: 1-line block ×3, first 2 shown]
	v_fmamk_f16 v50, v28, 0xb461, v29
	v_mul_f16_e32 v51, 0x3836, v30
	v_add_f16_e32 v19, v44, v19
	v_fma_f16 v29, v28, 0xb461, -v29
	v_mul_f16_e32 v44, 0x3964, v30
	v_add_f16_e32 v50, v50, v56
	v_fmamk_f16 v56, v28, 0xbacd, v51
	v_fma_f16 v51, v28, 0xbacd, -v51
	v_add_f16_e32 v29, v29, v45
	v_fmamk_f16 v45, v28, 0x39e9, v44
	v_mul_f16_e32 v63, 0xbb29, v30
	v_add_f16_e32 v56, v56, v57
	v_add_f16_e32 v49, v51, v49
	v_fma_f16 v44, v28, 0x39e9, -v44
	v_add_f16_e32 v45, v45, v54
	v_fmamk_f16 v51, v28, 0x3722, v63
	v_mul_f16_e32 v54, 0xb1e1, v30
	v_fma_f16 v57, v28, 0x3722, -v63
	v_mul_f16_e32 v63, 0xb5c8, v30
	v_add_f16_e32 v44, v44, v48
	v_add_f16_e32 v51, v51, v53
	v_fmamk_f16 v53, v28, 0xbbdd, v54
	v_fma_f16 v54, v28, 0xbbdd, -v54
	v_mul_f16_e32 v48, 0x3bf7, v30
	v_mul_f16_e32 v30, 0xba62, v30
	v_sub_f16_e32 v26, v26, v27
	v_add_f16_e32 v55, v57, v55
	v_add_f16_e32 v54, v54, v58
	v_fmamk_f16 v58, v28, 0x3b76, v63
	v_fmamk_f16 v57, v28, 0x2de8, v48
	v_fma_f16 v48, v28, 0x2de8, -v48
	v_fma_f16 v27, v28, 0x3b76, -v63
	v_add_f16_e32 v22, v22, v24
	v_add_f16_e32 v39, v58, v39
	v_fmamk_f16 v58, v28, 0xb8d2, v30
	v_mul_f16_e32 v24, 0xba62, v26
	v_fma_f16 v28, v28, 0xb8d2, -v30
	v_add_f16_e32 v27, v27, v46
	v_mul_f16_e32 v46, 0x3bb2, v26
	v_add_f16_e32 v30, v58, v47
	v_fmamk_f16 v47, v22, 0xb8d2, v24
	v_fma_f16 v24, v22, 0xb8d2, -v24
	v_add_f16_e32 v19, v28, v19
	v_mul_f16_e32 v28, 0xb5c8, v26
	v_fmamk_f16 v58, v22, 0xb461, v46
	v_add_f16_e32 v47, v47, v50
	v_add_f16_e32 v24, v24, v29
	v_fma_f16 v29, v22, 0xb461, -v46
	v_fmamk_f16 v46, v22, 0x3b76, v28
	v_add_f16_e32 v50, v58, v56
	v_mul_f16_e32 v56, 0xb836, v26
	v_fma_f16 v28, v22, 0x3b76, -v28
	v_add_f16_e32 v29, v29, v49
	v_add_f16_e32 v45, v46, v45
	v_mul_f16_e32 v46, 0x3bf7, v26
	v_fmamk_f16 v49, v22, 0xbacd, v56
	v_add_f16_e32 v28, v28, v44
	v_fma_f16 v44, v22, 0xbacd, -v56
	v_mul_f16_e32 v56, 0xb964, v26
	v_fmamk_f16 v58, v22, 0x2de8, v46
	v_fma_f16 v46, v22, 0x2de8, -v46
	v_add_f16_e32 v48, v48, v62
	v_add_f16_e32 v44, v44, v55
	v_fma_f16 v55, v22, 0x39e9, -v56
	v_sub_f16_e32 v20, v20, v21
	v_add_f16_e32 v46, v46, v54
	v_mul_f16_e32 v54, 0xb1e1, v26
	v_mul_f16_e32 v26, 0x3b29, v26
	v_add_f16_e32 v67, v67, v77
	v_add_f16_e32 v49, v49, v51
	v_fmamk_f16 v51, v22, 0x39e9, v56
	v_add_f16_e32 v48, v55, v48
	v_fmamk_f16 v21, v22, 0xbbdd, v54
	v_fma_f16 v54, v22, 0xbbdd, -v54
	v_fmamk_f16 v55, v22, 0x3722, v26
	v_add_f16_e32 v17, v17, v18
	v_mul_f16_e32 v18, 0xb836, v20
	v_fma_f16 v22, v22, 0x3722, -v26
	v_add_f16_e32 v67, v70, v67
	v_add_f16_e32 v21, v21, v39
	;; [unrolled: 1-line block ×4, first 2 shown]
	v_fmamk_f16 v30, v17, 0xbacd, v18
	v_mul_f16_e32 v39, 0x3b29, v20
	v_add_f16_e32 v19, v22, v19
	v_fma_f16 v18, v17, 0xbacd, -v18
	v_mul_f16_e32 v22, 0xbbf7, v20
	v_add_f16_e32 v59, v59, v67
	v_add_f16_e32 v30, v30, v47
	v_fmamk_f16 v47, v17, 0x3722, v39
	v_fma_f16 v39, v17, 0x3722, -v39
	v_add_f16_e32 v18, v18, v24
	v_fmamk_f16 v24, v17, 0x2de8, v22
	v_mul_f16_e32 v54, 0x3a62, v20
	v_fma_f16 v22, v17, 0x2de8, -v22
	v_add_f16_e32 v57, v57, v59
	v_add_f16_e32 v47, v47, v50
	;; [unrolled: 1-line block ×4, first 2 shown]
	v_fmamk_f16 v39, v17, 0xb8d2, v54
	v_mul_f16_e32 v45, 0xb5c8, v20
	v_fma_f16 v50, v17, 0xb8d2, -v54
	v_add_f16_e32 v22, v22, v28
	v_mul_f16_e32 v28, 0xb1e1, v20
	v_add_f16_e32 v51, v51, v57
	v_add_f16_e32 v39, v39, v49
	v_fmamk_f16 v49, v17, 0x3b76, v45
	v_add_f16_e32 v44, v50, v44
	v_fma_f16 v45, v17, 0x3b76, -v45
	v_fmamk_f16 v50, v17, 0xbbdd, v28
	v_mul_f16_e32 v54, 0x3964, v20
	v_fma_f16 v28, v17, 0xbbdd, -v28
	v_mul_f16_e32 v20, 0xbbb2, v20
	v_sub_f16_e32 v15, v15, v16
	v_add_f16_e32 v45, v45, v46
	v_add_f16_e32 v46, v50, v51
	v_fmamk_f16 v50, v17, 0x39e9, v54
	v_add_f16_e32 v28, v28, v48
	v_fma_f16 v16, v17, 0x39e9, -v54
	v_fmamk_f16 v48, v17, 0xb461, v20
	v_add_f16_e32 v10, v10, v12
	v_mul_f16_e32 v12, 0xb1e1, v15
	v_fma_f16 v17, v17, 0xb461, -v20
	v_add_f16_e32 v69, v69, v76
	v_add_f16_e32 v16, v16, v26
	;; [unrolled: 1-line block ×3, first 2 shown]
	v_mul_f16_e32 v26, 0x35c8, v15
	v_fmamk_f16 v27, v10, 0xbbdd, v12
	v_fma_f16 v12, v10, 0xbbdd, -v12
	v_add_f16_e32 v17, v17, v19
	v_mul_f16_e32 v19, 0xb836, v15
	v_add_f16_e32 v61, v61, v69
	v_fmamk_f16 v48, v10, 0x3b76, v26
	v_add_f16_e32 v12, v12, v18
	v_fma_f16 v18, v10, 0x3b76, -v26
	v_fmamk_f16 v26, v10, 0xbacd, v19
	v_add_f16_e32 v61, v66, v61
	v_add_f16_e32 v27, v27, v30
	;; [unrolled: 1-line block ×3, first 2 shown]
	v_mul_f16_e32 v47, 0x3964, v15
	v_fma_f16 v19, v10, 0xbacd, -v19
	v_add_f16_e32 v24, v26, v24
	v_mul_f16_e32 v26, 0xba62, v15
	v_add_f16_e32 v53, v53, v61
	v_add_f16_e32 v18, v18, v29
	v_fmamk_f16 v29, v10, 0x39e9, v47
	v_add_f16_e32 v19, v19, v22
	v_fma_f16 v22, v10, 0x39e9, -v47
	v_mul_f16_e32 v47, 0x3b29, v15
	v_fmamk_f16 v48, v10, 0xb8d2, v26
	v_fma_f16 v26, v10, 0xb8d2, -v26
	v_add_f16_e32 v53, v58, v53
	v_add_f16_e32 v29, v29, v39
	v_fmamk_f16 v39, v10, 0x3722, v47
	v_fma_f16 v47, v10, 0x3722, -v47
	v_add_f16_e32 v26, v26, v45
	v_mul_f16_e32 v45, 0xbbb2, v15
	v_mul_f16_e32 v15, 0x3bf7, v15
	v_mul_u32_u24_e32 v4, 0x66, v4
	v_add_f16_e32 v49, v49, v53
	v_add_f16_e32 v21, v50, v21
	;; [unrolled: 1-line block ×4, first 2 shown]
	v_fmamk_f16 v46, v10, 0xb461, v45
	v_fma_f16 v45, v10, 0xb461, -v45
	v_fmamk_f16 v47, v10, 0x2de8, v15
	v_fma_f16 v10, v10, 0x2de8, -v15
	v_add3_u32 v4, 0, v4, v8
	v_add_f16_e32 v22, v22, v44
	v_add_f16_e32 v44, v48, v49
	;; [unrolled: 1-line block ×6, first 2 shown]
	ds_store_b16 v4, v52
	ds_store_b16 v4, v27 offset:6
	ds_store_b16 v4, v30 offset:12
	;; [unrolled: 1-line block ×16, first 2 shown]
.LBB0_27:
	s_wait_alu 0xfffe
	s_or_b32 exec_lo, exec_lo, s1
	v_lshlrev_b32_e32 v4, 2, v60
	global_wb scope:SCOPE_SE
	s_wait_dscnt 0x0
	s_barrier_signal -1
	s_barrier_wait -1
	global_inv scope:SCOPE_SE
	s_clause 0x1
	global_load_b128 v[15:18], v4, s[8:9] offset:192
	global_load_b64 v[19:20], v4, s[8:9] offset:208
	ds_load_u16 v4, v0
	ds_load_u16 v8, v0 offset:408
	ds_load_u16 v10, v0 offset:1020
	ds_load_u16 v12, v13
	ds_load_u16 v21, v14
	ds_load_u16 v22, v0 offset:918
	ds_load_u16 v24, v0 offset:816
	;; [unrolled: 1-line block ×9, first 2 shown]
	v_lshl_add_u32 v29, v11, 1, 0
	global_wb scope:SCOPE_SE
	s_wait_loadcnt_dscnt 0x0
	s_barrier_signal -1
	s_barrier_wait -1
	global_inv scope:SCOPE_SE
	v_lshrrev_b32_e32 v46, 16, v15
	v_lshrrev_b32_e32 v47, 16, v16
	;; [unrolled: 1-line block ×6, first 2 shown]
	v_mul_f16_e32 v52, v12, v46
	v_mul_f16_e32 v53, v35, v46
	;; [unrolled: 1-line block ×24, first 2 shown]
	v_fma_f16 v35, v35, v15, -v52
	v_fmac_f16_e32 v53, v12, v15
	v_fma_f16 v12, v42, v16, -v54
	v_fmac_f16_e32 v59, v24, v18
	;; [unrolled: 2-line block ×4, first 2 shown]
	v_fmac_f16_e32 v63, v44, v20
	v_fma_f16 v8, v40, v17, -v56
	v_fmac_f16_e32 v57, v27, v17
	v_fma_f16 v27, v32, v18, -v58
	v_fma_f16 v32, v37, v15, -v64
	v_fmac_f16_e32 v46, v30, v15
	v_fma_f16 v15, v34, v16, -v65
	v_fmac_f16_e32 v47, v28, v16
	;; [unrolled: 2-line block ×6, first 2 shown]
	v_add_f16_e32 v20, v35, v10
	v_add_f16_e32 v28, v12, v24
	;; [unrolled: 1-line block ×4, first 2 shown]
	v_sub_f16_e32 v10, v35, v10
	v_sub_f16_e32 v26, v53, v63
	;; [unrolled: 1-line block ×4, first 2 shown]
	v_add_f16_e32 v31, v8, v27
	v_add_f16_e32 v33, v57, v59
	v_sub_f16_e32 v8, v27, v8
	v_sub_f16_e32 v27, v59, v57
	v_add_f16_e32 v34, v32, v19
	v_add_f16_e32 v35, v46, v51
	;; [unrolled: 1-line block ×4, first 2 shown]
	v_sub_f16_e32 v19, v32, v19
	v_sub_f16_e32 v15, v15, v18
	v_add_f16_e32 v38, v16, v17
	v_sub_f16_e32 v16, v17, v16
	v_add_f16_e32 v40, v28, v20
	v_add_f16_e32 v41, v30, v22
	v_sub_f16_e32 v32, v46, v51
	v_sub_f16_e32 v18, v47, v50
	v_add_f16_e32 v39, v48, v49
	v_sub_f16_e32 v17, v49, v48
	v_sub_f16_e32 v42, v28, v20
	;; [unrolled: 1-line block ×7, first 2 shown]
	v_add_f16_e32 v44, v8, v12
	v_add_f16_e32 v45, v27, v24
	v_sub_f16_e32 v46, v8, v12
	v_sub_f16_e32 v47, v27, v24
	;; [unrolled: 1-line block ×4, first 2 shown]
	v_add_f16_e32 v48, v36, v34
	v_add_f16_e32 v49, v37, v35
	;; [unrolled: 1-line block ×3, first 2 shown]
	v_sub_f16_e32 v54, v16, v15
	v_sub_f16_e32 v15, v15, v19
	v_add_f16_e32 v31, v31, v40
	v_add_f16_e32 v33, v33, v41
	v_sub_f16_e32 v8, v10, v8
	v_sub_f16_e32 v27, v26, v27
	;; [unrolled: 1-line block ×8, first 2 shown]
	v_add_f16_e32 v53, v17, v18
	v_sub_f16_e32 v55, v17, v18
	v_sub_f16_e32 v18, v18, v32
	v_add_f16_e32 v10, v44, v10
	v_add_f16_e32 v26, v45, v26
	v_mul_f16_e32 v20, 0x3a52, v20
	v_mul_f16_e32 v22, 0x3a52, v22
	;; [unrolled: 1-line block ×8, first 2 shown]
	v_add_f16_e32 v38, v38, v48
	v_add_f16_e32 v39, v39, v49
	v_sub_f16_e32 v16, v19, v16
	v_add_f16_e32 v19, v52, v19
	v_mul_f16_e32 v52, 0xb846, v54
	v_mul_f16_e32 v54, 0x3b00, v15
	v_add_f16_e32 v25, v25, v31
	v_add_f16_e32 v4, v4, v33
	v_sub_f16_e32 v17, v32, v17
	v_add_f16_e32 v32, v53, v32
	v_mul_f16_e32 v34, 0x3a52, v34
	v_mul_f16_e32 v35, 0x3a52, v35
	;; [unrolled: 1-line block ×6, first 2 shown]
	v_fmamk_f16 v28, v28, 0x2b26, v20
	v_fmamk_f16 v30, v30, 0x2b26, v22
	v_fma_f16 v40, v42, 0x39e0, -v40
	v_fma_f16 v41, v43, 0x39e0, -v41
	;; [unrolled: 1-line block ×4, first 2 shown]
	v_fmamk_f16 v42, v8, 0x3574, v44
	v_fmamk_f16 v43, v27, 0x3574, v45
	v_fma_f16 v12, v12, 0x3b00, -v44
	v_fma_f16 v24, v24, 0x3b00, -v45
	v_fma_f16 v8, v8, 0xb574, -v46
	v_fma_f16 v27, v27, 0xb574, -v47
	v_add_f16_e32 v23, v23, v38
	v_add_f16_e32 v44, v21, v39
	v_fmamk_f16 v46, v16, 0x3574, v52
	v_fma_f16 v15, v15, 0x3b00, -v52
	v_fma_f16 v16, v16, 0xb574, -v54
	v_fmamk_f16 v31, v31, 0xbcab, v25
	v_fmamk_f16 v33, v33, 0xbcab, v4
	;; [unrolled: 1-line block ×4, first 2 shown]
	v_fma_f16 v37, v50, 0x39e0, -v48
	v_fma_f16 v45, v51, 0x39e0, -v49
	;; [unrolled: 1-line block ×3, first 2 shown]
	v_fmamk_f16 v47, v17, 0x3574, v53
	v_fma_f16 v18, v18, 0x3b00, -v53
	v_fma_f16 v17, v17, 0xb574, -v55
	v_fmac_f16_e32 v42, 0x370e, v10
	v_fmac_f16_e32 v43, 0x370e, v26
	;; [unrolled: 1-line block ×6, first 2 shown]
	v_fmamk_f16 v10, v38, 0xbcab, v23
	v_fmamk_f16 v26, v39, 0xbcab, v44
	v_fma_f16 v35, v51, 0xb9e0, -v35
	v_fmac_f16_e32 v46, 0x370e, v19
	v_fmac_f16_e32 v15, 0x370e, v19
	;; [unrolled: 1-line block ×3, first 2 shown]
	v_add_f16_e32 v19, v28, v31
	v_add_f16_e32 v20, v20, v31
	;; [unrolled: 1-line block ×4, first 2 shown]
	v_fmac_f16_e32 v47, 0x370e, v32
	v_fmac_f16_e32 v18, 0x370e, v32
	;; [unrolled: 1-line block ×3, first 2 shown]
	v_add_f16_e32 v32, v41, v33
	v_add_f16_e32 v22, v22, v33
	;; [unrolled: 1-line block ×10, first 2 shown]
	v_sub_f16_e32 v39, v30, v24
	v_sub_f16_e32 v35, v28, v42
	;; [unrolled: 1-line block ×3, first 2 shown]
	v_add_f16_e32 v24, v24, v30
	v_sub_f16_e32 v20, v20, v27
	v_add_f16_e32 v8, v8, v22
	v_sub_f16_e32 v19, v19, v43
	v_add_f16_e32 v30, v42, v28
	v_add_f16_e32 v22, v47, v21
	v_add_f16_e32 v27, v17, v10
	v_sub_f16_e32 v28, v33, v18
	v_add_f16_e32 v42, v15, v36
	v_add_f16_e32 v18, v18, v33
	v_sub_f16_e32 v33, v36, v15
	v_sub_f16_e32 v15, v21, v47
	;; [unrolled: 1-line block ×4, first 2 shown]
	v_add_f16_e32 v36, v16, v26
	ds_store_b16 v0, v25
	ds_store_b16 v0, v34 offset:102
	ds_store_b16 v0, v37 offset:204
	;; [unrolled: 1-line block ×13, first 2 shown]
	global_wb scope:SCOPE_SE
	s_wait_dscnt 0x0
	s_barrier_signal -1
	s_barrier_wait -1
	global_inv scope:SCOPE_SE
	ds_load_u16 v16, v0 offset:408
	ds_load_u16 v18, v0 offset:510
	;; [unrolled: 1-line block ×4, first 2 shown]
	ds_load_u16 v15, v0
	ds_load_u16 v20, v29
	;; [unrolled: 1-line block ×4, first 2 shown]
	ds_load_u16 v23, v0 offset:816
	ds_load_u16 v24, v0 offset:918
	;; [unrolled: 1-line block ×6, first 2 shown]
	v_add_f16_e32 v40, v12, v32
	v_sub_f16_e32 v12, v32, v12
	v_sub_f16_e32 v32, v31, v46
	v_add_f16_e32 v31, v46, v31
	global_wb scope:SCOPE_SE
	s_wait_dscnt 0x0
	s_barrier_signal -1
	s_barrier_wait -1
	global_inv scope:SCOPE_SE
	ds_store_b16 v0, v4
	ds_store_b16 v0, v35 offset:102
	ds_store_b16 v0, v38 offset:204
	ds_store_b16 v0, v40 offset:306
	ds_store_b16 v0, v12 offset:408
	ds_store_b16 v0, v8 offset:510
	ds_store_b16 v0, v30 offset:612
	ds_store_b16 v0, v44 offset:714
	ds_store_b16 v0, v32 offset:816
	ds_store_b16 v0, v41 offset:918
	ds_store_b16 v0, v42 offset:1020
	ds_store_b16 v0, v33 offset:1122
	ds_store_b16 v0, v36 offset:1224
	ds_store_b16 v0, v31 offset:1326
	global_wb scope:SCOPE_SE
	s_wait_dscnt 0x0
	s_barrier_signal -1
	s_barrier_wait -1
	global_inv scope:SCOPE_SE
	s_and_saveexec_b32 s0, vcc_lo
	s_cbranch_execz .LBB0_29
; %bb.28:
	v_mov_b32_e32 v4, 0
	v_mul_lo_u32 v6, s2, v6
	s_delay_alu instid0(VALU_DEP_2) | instskip(SKIP_3) | instid1(VALU_DEP_4)
	v_mov_b32_e32 v12, v4
	v_lshlrev_b64_e32 v[30:31], 2, v[3:4]
	v_mov_b32_e32 v10, v4
	v_mov_b32_e32 v8, v4
	v_lshlrev_b64_e32 v[11:12], 2, v[11:12]
	s_delay_alu instid0(VALU_DEP_4) | instskip(NEXT) | instid1(VALU_DEP_4)
	v_add_co_u32 v30, vcc_lo, s8, v30
	v_lshlrev_b64_e32 v[9:10], 2, v[9:10]
	s_wait_alu 0xfffd
	v_add_co_ci_u32_e32 v31, vcc_lo, s9, v31, vcc_lo
	v_lshlrev_b64_e32 v[7:8], 2, v[7:8]
	v_add_co_u32 v11, vcc_lo, s8, v11
	s_wait_alu 0xfffd
	v_add_co_ci_u32_e32 v12, vcc_lo, s9, v12, vcc_lo
	v_add_co_u32 v9, vcc_lo, s8, v9
	s_wait_alu 0xfffd
	v_add_co_ci_u32_e32 v10, vcc_lo, s9, v10, vcc_lo
	;; [unrolled: 3-line block ×3, first 2 shown]
	s_clause 0x6
	global_load_b32 v56, v[30:31], off offset:2640
	global_load_b32 v57, v[11:12], off offset:1416
	global_load_b32 v58, v[9:10], off offset:1416
	global_load_b32 v59, v[7:8], off offset:1416
	global_load_b32 v60, v[30:31], off offset:2436
	global_load_b32 v61, v[30:31], off offset:2232
	global_load_b32 v62, v[30:31], off offset:1416
	v_mul_lo_u32 v7, s3, v5
	v_mad_co_u64_u32 v[4:5], null, s2, v5, 0
	v_mul_hi_u32 v8, 0x16f26017, v3
	v_add_nc_u32_e32 v9, 51, v3
	v_add_nc_u32_e32 v10, 0x66, v3
	;; [unrolled: 1-line block ×4, first 2 shown]
	ds_load_u16 v63, v0 offset:1326
	ds_load_u16 v64, v0 offset:1224
	;; [unrolled: 1-line block ×3, first 2 shown]
	ds_load_u16 v66, v13
	ds_load_u16 v67, v29
	ds_load_u16 v68, v14
	ds_load_u16 v69, v0 offset:1020
	ds_load_u16 v70, v0 offset:918
	;; [unrolled: 1-line block ×7, first 2 shown]
	ds_load_u16 v76, v0
	v_lshlrev_b64_e32 v[0:1], 2, v[1:2]
	v_mul_hi_u32 v2, 0x16f26017, v9
	v_mul_hi_u32 v29, 0x16f26017, v10
	;; [unrolled: 1-line block ×3, first 2 shown]
	v_add3_u32 v5, v5, v6, v7
	v_mul_hi_u32 v6, 0x16f26017, v12
	v_add_nc_u32_e32 v13, 0xff, v3
	v_add_nc_u32_e32 v14, 0x132, v3
	v_lshrrev_b32_e32 v8, 5, v8
	v_lshrrev_b32_e32 v32, 5, v2
	;; [unrolled: 1-line block ×3, first 2 shown]
	v_mul_hi_u32 v7, 0x16f26017, v13
	v_mul_hi_u32 v31, 0x16f26017, v14
	v_mul_u32_u24_e32 v8, 0x165, v8
	v_lshrrev_b32_e32 v30, 5, v30
	v_lshrrev_b32_e32 v6, 5, v6
	v_mul_u32_u24_e32 v34, 0x165, v29
	v_lshlrev_b64_e32 v[4:5], 2, v[4:5]
	v_sub_nc_u32_e32 v33, v3, v8
	v_mul_u32_u24_e32 v8, 0x165, v32
	v_mul_u32_u24_e32 v35, 0x165, v30
	;; [unrolled: 1-line block ×3, first 2 shown]
	v_lshrrev_b32_e32 v7, 5, v7
	v_lshrrev_b32_e32 v31, 5, v31
	v_sub_nc_u32_e32 v8, v9, v8
	v_sub_nc_u32_e32 v9, v10, v34
	;; [unrolled: 1-line block ×4, first 2 shown]
	v_mul_u32_u24_e32 v37, 0x165, v7
	v_mul_u32_u24_e32 v38, 0x165, v31
	v_add_co_u32 v4, vcc_lo, s6, v4
	s_delay_alu instid0(VALU_DEP_4)
	v_mad_u32_u24 v48, 0x2ca, v6, v11
	s_wait_alu 0xfffd
	v_add_co_ci_u32_e32 v5, vcc_lo, s7, v5, vcc_lo
	v_sub_nc_u32_e32 v12, v13, v37
	v_sub_nc_u32_e32 v13, v14, v38
	v_mad_u32_u24 v14, 0x2ca, v32, v8
	v_add_co_u32 v77, vcc_lo, v4, v0
	v_mad_u32_u24 v47, 0x2ca, v30, v10
	v_mad_co_u64_u32 v[10:11], null, s16, v48, 0
	v_add_nc_u32_e32 v44, 0x165, v33
	v_mad_co_u64_u32 v[2:3], null, s16, v33, 0
	s_wait_alu 0xfffd
	v_add_co_ci_u32_e32 v78, vcc_lo, v5, v1, vcc_lo
	v_mad_co_u64_u32 v[4:5], null, s16, v14, 0
	v_mad_u32_u24 v46, 0x2ca, v29, v9
	v_mad_u32_u24 v49, 0x2ca, v7, v12
	v_mad_co_u64_u32 v[0:1], null, s16, v44, 0
	v_mad_u32_u24 v50, 0x2ca, v31, v13
	v_add_nc_u32_e32 v51, 0x165, v14
	v_mad_co_u64_u32 v[6:7], null, s16, v46, 0
	v_mad_co_u64_u32 v[8:9], null, s16, v47, 0
	;; [unrolled: 1-line block ×4, first 2 shown]
	v_add_nc_u32_e32 v52, 0x165, v46
	v_mad_co_u64_u32 v[29:30], null, s16, v50, 0
	v_mad_co_u64_u32 v[32:33], null, s16, v51, 0
	v_add_nc_u32_e32 v53, 0x165, v47
	v_mad_co_u64_u32 v[44:45], null, s17, v44, v[1:2]
	v_dual_mov_b32 v1, v5 :: v_dual_add_nc_u32 v54, 0x165, v48
	v_mov_b32_e32 v3, v31
	v_add_nc_u32_e32 v55, 0x165, v49
	v_add_nc_u32_e32 v79, 0x165, v50
	v_mov_b32_e32 v5, v7
	v_mov_b32_e32 v7, v9
	;; [unrolled: 1-line block ×4, first 2 shown]
	v_mad_co_u64_u32 v[34:35], null, s16, v52, 0
	v_mov_b32_e32 v13, v30
	v_mad_co_u64_u32 v[30:31], null, s17, v14, v[1:2]
	v_mov_b32_e32 v14, v33
	v_mad_co_u64_u32 v[36:37], null, s16, v53, 0
	v_mad_co_u64_u32 v[38:39], null, s16, v54, 0
	;; [unrolled: 1-line block ×6, first 2 shown]
	v_mov_b32_e32 v5, v35
	v_mad_co_u64_u32 v[47:48], null, s17, v48, v[9:10]
	v_mad_co_u64_u32 v[48:49], null, s17, v49, v[11:12]
	v_mov_b32_e32 v7, v37
	v_mad_co_u64_u32 v[49:50], null, s17, v50, v[13:14]
	v_mov_b32_e32 v9, v39
	;; [unrolled: 2-line block ×4, first 2 shown]
	v_mov_b32_e32 v1, v44
	v_mad_co_u64_u32 v[52:53], null, s17, v53, v[7:8]
	v_lshlrev_b64_e32 v[2:3], 2, v[2:3]
	v_mad_co_u64_u32 v[43:44], null, s17, v54, v[9:10]
	v_mad_co_u64_u32 v[53:54], null, s17, v55, v[11:12]
	;; [unrolled: 1-line block ×3, first 2 shown]
	v_dual_mov_b32 v5, v30 :: v_dual_mov_b32 v30, v49
	v_lshlrev_b64_e32 v[0:1], 2, v[0:1]
	v_mov_b32_e32 v7, v45
	v_add_co_u32 v2, vcc_lo, v77, v2
	s_delay_alu instid0(VALU_DEP_4)
	v_lshlrev_b64_e32 v[4:5], 2, v[4:5]
	v_mov_b32_e32 v9, v46
	s_wait_alu 0xfffd
	v_add_co_ci_u32_e32 v3, vcc_lo, v78, v3, vcc_lo
	v_lshlrev_b64_e32 v[6:7], 2, v[6:7]
	v_add_co_u32 v0, vcc_lo, v77, v0
	v_mov_b32_e32 v11, v47
	s_wait_alu 0xfffd
	v_add_co_ci_u32_e32 v1, vcc_lo, v78, v1, vcc_lo
	v_lshlrev_b64_e32 v[8:9], 2, v[8:9]
	v_add_co_u32 v4, vcc_lo, v77, v4
	;; [unrolled: 5-line block ×3, first 2 shown]
	v_mov_b32_e32 v33, v50
	v_mov_b32_e32 v35, v51
	v_mov_b32_e32 v37, v52
	v_mov_b32_e32 v39, v43
	v_mov_b32_e32 v41, v53
	v_mov_b32_e32 v43, v54
	s_wait_alu 0xfffd
	v_add_co_ci_u32_e32 v7, vcc_lo, v78, v7, vcc_lo
	v_lshlrev_b64_e32 v[12:13], 2, v[12:13]
	v_add_co_u32 v8, vcc_lo, v77, v8
	s_wait_alu 0xfffd
	v_add_co_ci_u32_e32 v9, vcc_lo, v78, v9, vcc_lo
	v_lshlrev_b64_e32 v[29:30], 2, v[29:30]
	v_add_co_u32 v10, vcc_lo, v77, v10
	v_lshlrev_b64_e32 v[31:32], 2, v[32:33]
	v_lshlrev_b64_e32 v[33:34], 2, v[34:35]
	;; [unrolled: 1-line block ×6, first 2 shown]
	s_wait_alu 0xfffd
	v_add_co_ci_u32_e32 v11, vcc_lo, v78, v11, vcc_lo
	v_add_co_u32 v12, vcc_lo, v77, v12
	s_wait_alu 0xfffd
	v_add_co_ci_u32_e32 v13, vcc_lo, v78, v13, vcc_lo
	v_add_co_u32 v29, vcc_lo, v77, v29
	;; [unrolled: 3-line block ×8, first 2 shown]
	s_wait_alu 0xfffd
	v_add_co_ci_u32_e32 v42, vcc_lo, v78, v42, vcc_lo
	s_wait_loadcnt 0x5
	v_lshrrev_b32_e32 v46, 16, v57
	s_wait_loadcnt 0x4
	v_lshrrev_b32_e32 v47, 16, v58
	;; [unrolled: 2-line block ×4, first 2 shown]
	v_lshrrev_b32_e32 v14, 16, v56
	s_wait_loadcnt 0x0
	v_lshrrev_b32_e32 v49, 16, v62
	v_lshrrev_b32_e32 v45, 16, v61
	s_wait_dscnt 0x5
	v_mul_f16_e32 v53, v71, v48
	v_mul_f16_e32 v48, v23, v48
	v_mul_f16_e32 v43, v63, v14
	s_wait_dscnt 0x4
	v_mul_f16_e32 v54, v72, v49
	v_mul_f16_e32 v49, v21, v49
	;; [unrolled: 1-line block ×5, first 2 shown]
	v_fma_f16 v28, v28, v56, -v43
	v_mul_f16_e32 v43, v64, v44
	v_mul_f16_e32 v44, v27, v44
	;; [unrolled: 1-line block ×6, first 2 shown]
	v_fma_f16 v21, v21, v62, -v54
	v_fmac_f16_e32 v49, v62, v72
	v_fma_f16 v23, v23, v59, -v53
	v_fmac_f16_e32 v48, v59, v71
	;; [unrolled: 2-line block ×3, first 2 shown]
	v_fmac_f16_e32 v14, v56, v63
	v_fma_f16 v27, v27, v60, -v43
	v_fmac_f16_e32 v44, v60, v64
	v_fma_f16 v26, v26, v61, -v50
	;; [unrolled: 2-line block ×3, first 2 shown]
	v_fmac_f16_e32 v46, v57, v69
	v_sub_f16_e32 v21, v15, v21
	s_wait_dscnt 0x0
	v_sub_f16_e32 v49, v76, v49
	v_sub_f16_e32 v23, v17, v23
	;; [unrolled: 1-line block ×13, first 2 shown]
	v_fma_f16 v15, v15, 2.0, -v21
	v_fma_f16 v54, v76, 2.0, -v49
	;; [unrolled: 1-line block ×8, first 2 shown]
	v_pack_b32_f16 v14, v28, v14
	v_fma_f16 v18, v18, 2.0, -v27
	v_fma_f16 v28, v74, 2.0, -v44
	;; [unrolled: 1-line block ×6, first 2 shown]
	v_pack_b32_f16 v15, v15, v54
	v_pack_b32_f16 v21, v21, v49
	;; [unrolled: 1-line block ×13, first 2 shown]
	s_clause 0xd
	global_store_b32 v[2:3], v15, off
	global_store_b32 v[0:1], v21, off
	;; [unrolled: 1-line block ×14, first 2 shown]
.LBB0_29:
	s_nop 0
	s_sendmsg sendmsg(MSG_DEALLOC_VGPRS)
	s_endpgm
	.section	.rodata,"a",@progbits
	.p2align	6, 0x0
	.amdhsa_kernel fft_rtc_fwd_len714_factors_3_17_7_2_wgs_51_tpt_51_halfLds_half_op_CI_CI_sbrr_dirReg
		.amdhsa_group_segment_fixed_size 0
		.amdhsa_private_segment_fixed_size 0
		.amdhsa_kernarg_size 104
		.amdhsa_user_sgpr_count 2
		.amdhsa_user_sgpr_dispatch_ptr 0
		.amdhsa_user_sgpr_queue_ptr 0
		.amdhsa_user_sgpr_kernarg_segment_ptr 1
		.amdhsa_user_sgpr_dispatch_id 0
		.amdhsa_user_sgpr_private_segment_size 0
		.amdhsa_wavefront_size32 1
		.amdhsa_uses_dynamic_stack 0
		.amdhsa_enable_private_segment 0
		.amdhsa_system_sgpr_workgroup_id_x 1
		.amdhsa_system_sgpr_workgroup_id_y 0
		.amdhsa_system_sgpr_workgroup_id_z 0
		.amdhsa_system_sgpr_workgroup_info 0
		.amdhsa_system_vgpr_workitem_id 0
		.amdhsa_next_free_vgpr 97
		.amdhsa_next_free_sgpr 43
		.amdhsa_reserve_vcc 1
		.amdhsa_float_round_mode_32 0
		.amdhsa_float_round_mode_16_64 0
		.amdhsa_float_denorm_mode_32 3
		.amdhsa_float_denorm_mode_16_64 3
		.amdhsa_fp16_overflow 0
		.amdhsa_workgroup_processor_mode 1
		.amdhsa_memory_ordered 1
		.amdhsa_forward_progress 0
		.amdhsa_round_robin_scheduling 0
		.amdhsa_exception_fp_ieee_invalid_op 0
		.amdhsa_exception_fp_denorm_src 0
		.amdhsa_exception_fp_ieee_div_zero 0
		.amdhsa_exception_fp_ieee_overflow 0
		.amdhsa_exception_fp_ieee_underflow 0
		.amdhsa_exception_fp_ieee_inexact 0
		.amdhsa_exception_int_div_zero 0
	.end_amdhsa_kernel
	.text
.Lfunc_end0:
	.size	fft_rtc_fwd_len714_factors_3_17_7_2_wgs_51_tpt_51_halfLds_half_op_CI_CI_sbrr_dirReg, .Lfunc_end0-fft_rtc_fwd_len714_factors_3_17_7_2_wgs_51_tpt_51_halfLds_half_op_CI_CI_sbrr_dirReg
                                        ; -- End function
	.section	.AMDGPU.csdata,"",@progbits
; Kernel info:
; codeLenInByte = 13712
; NumSgprs: 45
; NumVgprs: 97
; ScratchSize: 0
; MemoryBound: 0
; FloatMode: 240
; IeeeMode: 1
; LDSByteSize: 0 bytes/workgroup (compile time only)
; SGPRBlocks: 5
; VGPRBlocks: 12
; NumSGPRsForWavesPerEU: 45
; NumVGPRsForWavesPerEU: 97
; Occupancy: 12
; WaveLimiterHint : 1
; COMPUTE_PGM_RSRC2:SCRATCH_EN: 0
; COMPUTE_PGM_RSRC2:USER_SGPR: 2
; COMPUTE_PGM_RSRC2:TRAP_HANDLER: 0
; COMPUTE_PGM_RSRC2:TGID_X_EN: 1
; COMPUTE_PGM_RSRC2:TGID_Y_EN: 0
; COMPUTE_PGM_RSRC2:TGID_Z_EN: 0
; COMPUTE_PGM_RSRC2:TIDIG_COMP_CNT: 0
	.text
	.p2alignl 7, 3214868480
	.fill 96, 4, 3214868480
	.type	__hip_cuid_6534c3869fd3507c,@object ; @__hip_cuid_6534c3869fd3507c
	.section	.bss,"aw",@nobits
	.globl	__hip_cuid_6534c3869fd3507c
__hip_cuid_6534c3869fd3507c:
	.byte	0                               ; 0x0
	.size	__hip_cuid_6534c3869fd3507c, 1

	.ident	"AMD clang version 19.0.0git (https://github.com/RadeonOpenCompute/llvm-project roc-6.4.0 25133 c7fe45cf4b819c5991fe208aaa96edf142730f1d)"
	.section	".note.GNU-stack","",@progbits
	.addrsig
	.addrsig_sym __hip_cuid_6534c3869fd3507c
	.amdgpu_metadata
---
amdhsa.kernels:
  - .args:
      - .actual_access:  read_only
        .address_space:  global
        .offset:         0
        .size:           8
        .value_kind:     global_buffer
      - .offset:         8
        .size:           8
        .value_kind:     by_value
      - .actual_access:  read_only
        .address_space:  global
        .offset:         16
        .size:           8
        .value_kind:     global_buffer
      - .actual_access:  read_only
        .address_space:  global
        .offset:         24
        .size:           8
        .value_kind:     global_buffer
      - .actual_access:  read_only
        .address_space:  global
        .offset:         32
        .size:           8
        .value_kind:     global_buffer
      - .offset:         40
        .size:           8
        .value_kind:     by_value
      - .actual_access:  read_only
        .address_space:  global
        .offset:         48
        .size:           8
        .value_kind:     global_buffer
      - .actual_access:  read_only
        .address_space:  global
        .offset:         56
        .size:           8
        .value_kind:     global_buffer
      - .offset:         64
        .size:           4
        .value_kind:     by_value
      - .actual_access:  read_only
        .address_space:  global
        .offset:         72
        .size:           8
        .value_kind:     global_buffer
      - .actual_access:  read_only
        .address_space:  global
        .offset:         80
        .size:           8
        .value_kind:     global_buffer
      - .actual_access:  read_only
        .address_space:  global
        .offset:         88
        .size:           8
        .value_kind:     global_buffer
      - .actual_access:  write_only
        .address_space:  global
        .offset:         96
        .size:           8
        .value_kind:     global_buffer
    .group_segment_fixed_size: 0
    .kernarg_segment_align: 8
    .kernarg_segment_size: 104
    .language:       OpenCL C
    .language_version:
      - 2
      - 0
    .max_flat_workgroup_size: 51
    .name:           fft_rtc_fwd_len714_factors_3_17_7_2_wgs_51_tpt_51_halfLds_half_op_CI_CI_sbrr_dirReg
    .private_segment_fixed_size: 0
    .sgpr_count:     45
    .sgpr_spill_count: 0
    .symbol:         fft_rtc_fwd_len714_factors_3_17_7_2_wgs_51_tpt_51_halfLds_half_op_CI_CI_sbrr_dirReg.kd
    .uniform_work_group_size: 1
    .uses_dynamic_stack: false
    .vgpr_count:     97
    .vgpr_spill_count: 0
    .wavefront_size: 32
    .workgroup_processor_mode: 1
amdhsa.target:   amdgcn-amd-amdhsa--gfx1201
amdhsa.version:
  - 1
  - 2
...

	.end_amdgpu_metadata
